;; amdgpu-corpus repo=ROCm/rocFFT kind=compiled arch=gfx1030 opt=O3
	.text
	.amdgcn_target "amdgcn-amd-amdhsa--gfx1030"
	.amdhsa_code_object_version 6
	.protected	fft_rtc_fwd_len952_factors_17_4_2_7_wgs_204_tpt_68_halfLds_sp_ip_CI_sbrr_dirReg ; -- Begin function fft_rtc_fwd_len952_factors_17_4_2_7_wgs_204_tpt_68_halfLds_sp_ip_CI_sbrr_dirReg
	.globl	fft_rtc_fwd_len952_factors_17_4_2_7_wgs_204_tpt_68_halfLds_sp_ip_CI_sbrr_dirReg
	.p2align	8
	.type	fft_rtc_fwd_len952_factors_17_4_2_7_wgs_204_tpt_68_halfLds_sp_ip_CI_sbrr_dirReg,@function
fft_rtc_fwd_len952_factors_17_4_2_7_wgs_204_tpt_68_halfLds_sp_ip_CI_sbrr_dirReg: ; @fft_rtc_fwd_len952_factors_17_4_2_7_wgs_204_tpt_68_halfLds_sp_ip_CI_sbrr_dirReg
; %bb.0:
	s_clause 0x1
	s_load_dwordx2 s[14:15], s[4:5], 0x18
	s_load_dwordx4 s[8:11], s[4:5], 0x0
	v_mul_u32_u24_e32 v1, 0x3c4, v0
	v_mov_b32_e32 v3, 0
	s_load_dwordx2 s[12:13], s[4:5], 0x50
	s_waitcnt lgkmcnt(0)
	s_load_dwordx2 s[2:3], s[14:15], 0x0
	v_lshrrev_b32_e32 v1, 16, v1
	v_cmp_lt_u64_e64 s0, s[10:11], 2
	v_mad_u64_u32 v[17:18], null, s6, 3, v[1:2]
	v_mov_b32_e32 v18, v3
	v_mov_b32_e32 v1, 0
	;; [unrolled: 1-line block ×3, first 2 shown]
	s_and_b32 vcc_lo, exec_lo, s0
	v_mov_b32_e32 v7, v17
	v_mov_b32_e32 v8, v18
	s_cbranch_vccnz .LBB0_8
; %bb.1:
	s_load_dwordx2 s[0:1], s[4:5], 0x10
	v_mov_b32_e32 v1, 0
	v_mov_b32_e32 v5, v17
	s_add_u32 s6, s14, 8
	v_mov_b32_e32 v2, 0
	v_mov_b32_e32 v6, v18
	s_addc_u32 s7, s15, 0
	s_mov_b64 s[18:19], 1
	s_waitcnt lgkmcnt(0)
	s_add_u32 s16, s0, 8
	s_addc_u32 s17, s1, 0
.LBB0_2:                                ; =>This Inner Loop Header: Depth=1
	s_load_dwordx2 s[20:21], s[16:17], 0x0
                                        ; implicit-def: $vgpr7_vgpr8
	s_mov_b32 s0, exec_lo
	s_waitcnt lgkmcnt(0)
	v_or_b32_e32 v4, s21, v6
	v_cmpx_ne_u64_e32 0, v[3:4]
	s_xor_b32 s1, exec_lo, s0
	s_cbranch_execz .LBB0_4
; %bb.3:                                ;   in Loop: Header=BB0_2 Depth=1
	v_cvt_f32_u32_e32 v4, s20
	v_cvt_f32_u32_e32 v7, s21
	s_sub_u32 s0, 0, s20
	s_subb_u32 s22, 0, s21
	v_fmac_f32_e32 v4, 0x4f800000, v7
	v_rcp_f32_e32 v4, v4
	v_mul_f32_e32 v4, 0x5f7ffffc, v4
	v_mul_f32_e32 v7, 0x2f800000, v4
	v_trunc_f32_e32 v7, v7
	v_fmac_f32_e32 v4, 0xcf800000, v7
	v_cvt_u32_f32_e32 v7, v7
	v_cvt_u32_f32_e32 v4, v4
	v_mul_lo_u32 v8, s0, v7
	v_mul_hi_u32 v9, s0, v4
	v_mul_lo_u32 v10, s22, v4
	v_add_nc_u32_e32 v8, v9, v8
	v_mul_lo_u32 v9, s0, v4
	v_add_nc_u32_e32 v8, v8, v10
	v_mul_hi_u32 v10, v4, v9
	v_mul_lo_u32 v11, v4, v8
	v_mul_hi_u32 v12, v4, v8
	v_mul_hi_u32 v13, v7, v9
	v_mul_lo_u32 v9, v7, v9
	v_mul_hi_u32 v14, v7, v8
	v_mul_lo_u32 v8, v7, v8
	v_add_co_u32 v10, vcc_lo, v10, v11
	v_add_co_ci_u32_e32 v11, vcc_lo, 0, v12, vcc_lo
	v_add_co_u32 v9, vcc_lo, v10, v9
	v_add_co_ci_u32_e32 v9, vcc_lo, v11, v13, vcc_lo
	v_add_co_ci_u32_e32 v10, vcc_lo, 0, v14, vcc_lo
	v_add_co_u32 v8, vcc_lo, v9, v8
	v_add_co_ci_u32_e32 v9, vcc_lo, 0, v10, vcc_lo
	v_add_co_u32 v4, vcc_lo, v4, v8
	v_add_co_ci_u32_e32 v7, vcc_lo, v7, v9, vcc_lo
	v_mul_hi_u32 v8, s0, v4
	v_mul_lo_u32 v10, s22, v4
	v_mul_lo_u32 v9, s0, v7
	v_add_nc_u32_e32 v8, v8, v9
	v_mul_lo_u32 v9, s0, v4
	v_add_nc_u32_e32 v8, v8, v10
	v_mul_hi_u32 v10, v4, v9
	v_mul_lo_u32 v11, v4, v8
	v_mul_hi_u32 v12, v4, v8
	v_mul_hi_u32 v13, v7, v9
	v_mul_lo_u32 v9, v7, v9
	v_mul_hi_u32 v14, v7, v8
	v_mul_lo_u32 v8, v7, v8
	v_add_co_u32 v10, vcc_lo, v10, v11
	v_add_co_ci_u32_e32 v11, vcc_lo, 0, v12, vcc_lo
	v_add_co_u32 v9, vcc_lo, v10, v9
	v_add_co_ci_u32_e32 v9, vcc_lo, v11, v13, vcc_lo
	v_add_co_ci_u32_e32 v10, vcc_lo, 0, v14, vcc_lo
	v_add_co_u32 v8, vcc_lo, v9, v8
	v_add_co_ci_u32_e32 v9, vcc_lo, 0, v10, vcc_lo
	v_add_co_u32 v4, vcc_lo, v4, v8
	v_add_co_ci_u32_e32 v11, vcc_lo, v7, v9, vcc_lo
	v_mul_hi_u32 v13, v5, v4
	v_mad_u64_u32 v[9:10], null, v6, v4, 0
	v_mad_u64_u32 v[7:8], null, v5, v11, 0
	v_mad_u64_u32 v[11:12], null, v6, v11, 0
	v_add_co_u32 v4, vcc_lo, v13, v7
	v_add_co_ci_u32_e32 v7, vcc_lo, 0, v8, vcc_lo
	v_add_co_u32 v4, vcc_lo, v4, v9
	v_add_co_ci_u32_e32 v4, vcc_lo, v7, v10, vcc_lo
	v_add_co_ci_u32_e32 v7, vcc_lo, 0, v12, vcc_lo
	v_add_co_u32 v4, vcc_lo, v4, v11
	v_add_co_ci_u32_e32 v9, vcc_lo, 0, v7, vcc_lo
	v_mul_lo_u32 v10, s21, v4
	v_mad_u64_u32 v[7:8], null, s20, v4, 0
	v_mul_lo_u32 v11, s20, v9
	v_sub_co_u32 v7, vcc_lo, v5, v7
	v_add3_u32 v8, v8, v11, v10
	v_sub_nc_u32_e32 v10, v6, v8
	v_subrev_co_ci_u32_e64 v10, s0, s21, v10, vcc_lo
	v_add_co_u32 v11, s0, v4, 2
	v_add_co_ci_u32_e64 v12, s0, 0, v9, s0
	v_sub_co_u32 v13, s0, v7, s20
	v_sub_co_ci_u32_e32 v8, vcc_lo, v6, v8, vcc_lo
	v_subrev_co_ci_u32_e64 v10, s0, 0, v10, s0
	v_cmp_le_u32_e32 vcc_lo, s20, v13
	v_cmp_eq_u32_e64 s0, s21, v8
	v_cndmask_b32_e64 v13, 0, -1, vcc_lo
	v_cmp_le_u32_e32 vcc_lo, s21, v10
	v_cndmask_b32_e64 v14, 0, -1, vcc_lo
	v_cmp_le_u32_e32 vcc_lo, s20, v7
	;; [unrolled: 2-line block ×3, first 2 shown]
	v_cndmask_b32_e64 v15, 0, -1, vcc_lo
	v_cmp_eq_u32_e32 vcc_lo, s21, v10
	v_cndmask_b32_e64 v7, v15, v7, s0
	v_cndmask_b32_e32 v10, v14, v13, vcc_lo
	v_add_co_u32 v13, vcc_lo, v4, 1
	v_add_co_ci_u32_e32 v14, vcc_lo, 0, v9, vcc_lo
	v_cmp_ne_u32_e32 vcc_lo, 0, v10
	v_cndmask_b32_e32 v8, v14, v12, vcc_lo
	v_cndmask_b32_e32 v10, v13, v11, vcc_lo
	v_cmp_ne_u32_e32 vcc_lo, 0, v7
	v_cndmask_b32_e32 v8, v9, v8, vcc_lo
	v_cndmask_b32_e32 v7, v4, v10, vcc_lo
.LBB0_4:                                ;   in Loop: Header=BB0_2 Depth=1
	s_andn2_saveexec_b32 s0, s1
	s_cbranch_execz .LBB0_6
; %bb.5:                                ;   in Loop: Header=BB0_2 Depth=1
	v_cvt_f32_u32_e32 v4, s20
	s_sub_i32 s1, 0, s20
	v_rcp_iflag_f32_e32 v4, v4
	v_mul_f32_e32 v4, 0x4f7ffffe, v4
	v_cvt_u32_f32_e32 v4, v4
	v_mul_lo_u32 v7, s1, v4
	v_mul_hi_u32 v7, v4, v7
	v_add_nc_u32_e32 v4, v4, v7
	v_mul_hi_u32 v4, v5, v4
	v_mul_lo_u32 v7, v4, s20
	v_add_nc_u32_e32 v8, 1, v4
	v_sub_nc_u32_e32 v7, v5, v7
	v_subrev_nc_u32_e32 v9, s20, v7
	v_cmp_le_u32_e32 vcc_lo, s20, v7
	v_cndmask_b32_e32 v7, v7, v9, vcc_lo
	v_cndmask_b32_e32 v4, v4, v8, vcc_lo
	v_cmp_le_u32_e32 vcc_lo, s20, v7
	v_add_nc_u32_e32 v8, 1, v4
	v_cndmask_b32_e32 v7, v4, v8, vcc_lo
	v_mov_b32_e32 v8, v3
.LBB0_6:                                ;   in Loop: Header=BB0_2 Depth=1
	s_or_b32 exec_lo, exec_lo, s0
	s_load_dwordx2 s[0:1], s[6:7], 0x0
	v_mul_lo_u32 v4, v8, s20
	v_mul_lo_u32 v11, v7, s21
	v_mad_u64_u32 v[9:10], null, v7, s20, 0
	s_add_u32 s18, s18, 1
	s_addc_u32 s19, s19, 0
	s_add_u32 s6, s6, 8
	s_addc_u32 s7, s7, 0
	s_add_u32 s16, s16, 8
	s_addc_u32 s17, s17, 0
	v_add3_u32 v4, v10, v11, v4
	v_sub_co_u32 v5, vcc_lo, v5, v9
	v_sub_co_ci_u32_e32 v4, vcc_lo, v6, v4, vcc_lo
	s_waitcnt lgkmcnt(0)
	v_mul_lo_u32 v6, s1, v5
	v_mul_lo_u32 v4, s0, v4
	v_mad_u64_u32 v[1:2], null, s0, v5, v[1:2]
	v_cmp_ge_u64_e64 s0, s[18:19], s[10:11]
	s_and_b32 vcc_lo, exec_lo, s0
	v_add3_u32 v2, v6, v2, v4
	s_cbranch_vccnz .LBB0_8
; %bb.7:                                ;   in Loop: Header=BB0_2 Depth=1
	v_mov_b32_e32 v5, v7
	v_mov_b32_e32 v6, v8
	s_branch .LBB0_2
.LBB0_8:
	s_lshl_b64 s[0:1], s[10:11], 3
	v_mul_hi_u32 v4, 0x3c3c3c4, v0
	s_add_u32 s0, s14, s0
	s_addc_u32 s1, s15, s1
                                        ; implicit-def: $vgpr15
                                        ; implicit-def: $vgpr13
                                        ; implicit-def: $vgpr11
                                        ; implicit-def: $vgpr9
                                        ; implicit-def: $vgpr39
                                        ; implicit-def: $vgpr31
                                        ; implicit-def: $vgpr27
                                        ; implicit-def: $vgpr25
                                        ; implicit-def: $vgpr41
                                        ; implicit-def: $vgpr37
                                        ; implicit-def: $vgpr33
                                        ; implicit-def: $vgpr29
                                        ; implicit-def: $vgpr35
	s_load_dwordx2 s[0:1], s[0:1], 0x0
	s_load_dwordx2 s[4:5], s[4:5], 0x20
	s_waitcnt lgkmcnt(0)
	v_mul_lo_u32 v5, s0, v8
	v_mul_lo_u32 v6, s1, v7
	v_mad_u64_u32 v[2:3], null, s0, v7, v[1:2]
	v_mul_u32_u24_e32 v1, 0x44, v4
	v_cmp_gt_u64_e32 vcc_lo, s[4:5], v[7:8]
                                        ; implicit-def: $vgpr7
	v_sub_nc_u32_e32 v16, v0, v1
	v_add3_u32 v3, v6, v3, v5
	v_mov_b32_e32 v1, 0
	v_mov_b32_e32 v0, 0
                                        ; implicit-def: $vgpr5
	v_cmp_gt_u32_e64 s0, 56, v16
	v_lshlrev_b64 v[18:19], 3, v[2:3]
                                        ; implicit-def: $vgpr3
	s_and_b32 s1, vcc_lo, s0
	s_and_saveexec_b32 s4, s1
	s_cbranch_execz .LBB0_10
; %bb.9:
	v_add_nc_u32_e32 v8, 56, v16
	v_add_nc_u32_e32 v9, 0x70, v16
	v_mad_u64_u32 v[0:1], null, s2, v16, 0
	v_add_nc_u32_e32 v10, 0xa8, v16
	v_mad_u64_u32 v[2:3], null, s2, v8, 0
	v_mad_u64_u32 v[4:5], null, s2, v9, 0
	v_add_nc_u32_e32 v14, 0xe0, v16
	v_add_nc_u32_e32 v15, 0x118, v16
	v_add_co_u32 v44, s1, s12, v18
	v_mad_u64_u32 v[6:7], null, s3, v16, v[1:2]
	v_mov_b32_e32 v1, v3
	v_mov_b32_e32 v3, v5
	v_mad_u64_u32 v[12:13], null, s2, v15, 0
	v_add_co_ci_u32_e64 v45, s1, s13, v19, s1
	v_mad_u64_u32 v[7:8], null, s3, v8, v[1:2]
	v_mov_b32_e32 v1, v6
	v_mad_u64_u32 v[5:6], null, s3, v9, v[3:4]
	v_mad_u64_u32 v[8:9], null, s2, v10, 0
	v_lshlrev_b64 v[0:1], 3, v[0:1]
	v_mov_b32_e32 v3, v7
	v_add_nc_u32_e32 v22, 0x150, v16
	v_add_nc_u32_e32 v23, 0x188, v16
	v_lshlrev_b64 v[4:5], 3, v[4:5]
	v_or_b32_e32 v25, 0x1c0, v16
	v_mov_b32_e32 v6, v9
	v_lshlrev_b64 v[2:3], 3, v[2:3]
	v_add_co_u32 v0, s1, v44, v0
	v_add_co_ci_u32_e64 v1, s1, v45, v1, s1
	v_mad_u64_u32 v[6:7], null, s3, v10, v[6:7]
	v_mad_u64_u32 v[10:11], null, s2, v14, 0
	v_mov_b32_e32 v7, v13
	v_add_co_u32 v2, s1, v44, v2
	v_add_co_ci_u32_e64 v3, s1, v45, v3, s1
	v_mov_b32_e32 v9, v6
	v_mov_b32_e32 v6, v11
	v_add_co_u32 v4, s1, v44, v4
	v_add_co_ci_u32_e64 v5, s1, v45, v5, s1
	v_lshlrev_b64 v[8:9], 3, v[8:9]
	v_mad_u64_u32 v[13:14], null, s3, v14, v[6:7]
	v_mad_u64_u32 v[20:21], null, s2, v23, 0
	v_add_nc_u32_e32 v33, 0x230, v16
	v_mad_u64_u32 v[6:7], null, s3, v15, v[7:8]
	v_mad_u64_u32 v[14:15], null, s2, v22, 0
	v_mov_b32_e32 v11, v13
	v_add_co_u32 v8, s1, v44, v8
	v_add_co_ci_u32_e64 v9, s1, v45, v9, s1
	v_mov_b32_e32 v13, v6
	s_clause 0x3
	global_load_dwordx2 v[0:1], v[0:1], off
	global_load_dwordx2 v[6:7], v[2:3], off
	;; [unrolled: 1-line block ×4, first 2 shown]
	v_lshlrev_b64 v[8:9], 3, v[10:11]
	v_mov_b32_e32 v10, v15
	v_mad_u64_u32 v[29:30], null, s2, v33, 0
	v_lshlrev_b64 v[11:12], 3, v[12:13]
	v_mov_b32_e32 v13, v21
	v_add_co_u32 v8, s1, v44, v8
	v_add_co_ci_u32_e64 v9, s1, v45, v9, s1
	v_mad_u64_u32 v[21:22], null, s3, v22, v[10:11]
	v_mad_u64_u32 v[22:23], null, s3, v23, v[13:14]
	;; [unrolled: 1-line block ×3, first 2 shown]
	v_add_co_u32 v10, s1, v44, v11
	v_mov_b32_e32 v15, v21
	v_add_co_ci_u32_e64 v11, s1, v45, v12, s1
	v_mov_b32_e32 v21, v22
	v_mov_b32_e32 v12, v24
	v_lshlrev_b64 v[13:14], 3, v[14:15]
	v_add_nc_u32_e32 v15, 0x1f8, v16
	v_mov_b32_e32 v22, v30
	v_lshlrev_b64 v[20:21], 3, v[20:21]
	v_add_nc_u32_e32 v38, 0x2d8, v16
	v_add_nc_u32_e32 v39, 0x310, v16
	v_mad_u64_u32 v[24:25], null, s3, v25, v[12:13]
	v_mad_u64_u32 v[25:26], null, s2, v15, 0
	v_add_co_u32 v27, s1, v44, v13
	v_add_co_ci_u32_e64 v28, s1, v45, v14, s1
	v_add_co_u32 v20, s1, v44, v20
	v_mov_b32_e32 v12, v26
	v_add_co_ci_u32_e64 v21, s1, v45, v21, s1
	v_mad_u64_u32 v[34:35], null, s2, v38, 0
	v_mad_u64_u32 v[31:32], null, s3, v15, v[12:13]
	v_add_nc_u32_e32 v32, 0x268, v16
	s_clause 0x3
	global_load_dwordx2 v[14:15], v[8:9], off
	global_load_dwordx2 v[12:13], v[10:11], off
	;; [unrolled: 1-line block ×4, first 2 shown]
	v_lshlrev_b64 v[20:21], 3, v[23:24]
	v_mad_u64_u32 v[36:37], null, s2, v39, 0
	v_mad_u64_u32 v[23:24], null, s2, v32, 0
	v_mov_b32_e32 v26, v31
	v_add_nc_u32_e32 v31, 0x2a0, v16
	v_add_co_u32 v20, s1, v44, v20
	v_add_co_ci_u32_e64 v21, s1, v45, v21, s1
	v_mad_u64_u32 v[27:28], null, s3, v33, v[22:23]
	v_mov_b32_e32 v22, v24
	v_lshlrev_b64 v[24:25], 3, v[25:26]
	v_add_nc_u32_e32 v46, 0x348, v16
	v_or_b32_e32 v47, 0x380, v16
	v_mov_b32_e32 v30, v27
	v_mad_u64_u32 v[26:27], null, s3, v32, v[22:23]
	v_mad_u64_u32 v[32:33], null, s2, v31, 0
	v_add_co_u32 v27, s1, v44, v24
	v_lshlrev_b64 v[29:30], 3, v[29:30]
	v_add_co_ci_u32_e64 v28, s1, v45, v25, s1
	v_mov_b32_e32 v24, v26
	v_mov_b32_e32 v22, v33
	v_mad_u64_u32 v[40:41], null, s2, v46, 0
	v_add_co_u32 v25, s1, v44, v29
	v_lshlrev_b64 v[23:24], 3, v[23:24]
	v_add_co_ci_u32_e64 v26, s1, v45, v30, s1
	v_mad_u64_u32 v[42:43], null, s2, v47, 0
	v_mad_u64_u32 v[29:30], null, s3, v31, v[22:23]
	v_mov_b32_e32 v22, v35
	v_add_co_u32 v23, s1, v44, v23
	v_add_co_ci_u32_e64 v24, s1, v45, v24, s1
	v_mov_b32_e32 v33, v29
	v_mad_u64_u32 v[29:30], null, s3, v38, v[22:23]
	v_mov_b32_e32 v22, v37
	v_mad_u64_u32 v[37:38], null, s3, v39, v[22:23]
	s_clause 0x3
	global_load_dwordx2 v[38:39], v[20:21], off
	global_load_dwordx2 v[30:31], v[27:28], off
	;; [unrolled: 1-line block ×4, first 2 shown]
	v_lshlrev_b64 v[21:22], 3, v[32:33]
	v_mov_b32_e32 v20, v41
	v_mov_b32_e32 v35, v29
	v_mad_u64_u32 v[28:29], null, s3, v46, v[20:21]
	v_mov_b32_e32 v20, v43
	v_add_co_u32 v21, s1, v44, v21
	v_lshlrev_b64 v[32:33], 3, v[34:35]
	v_add_co_ci_u32_e64 v22, s1, v45, v22, s1
	v_mad_u64_u32 v[34:35], null, s3, v47, v[20:21]
	v_lshlrev_b64 v[35:36], 3, v[36:37]
	v_mov_b32_e32 v41, v28
	v_add_co_u32 v28, s1, v44, v32
	v_add_co_ci_u32_e64 v29, s1, v45, v33, s1
	v_mov_b32_e32 v43, v34
	v_lshlrev_b64 v[32:33], 3, v[40:41]
	v_add_co_u32 v34, s1, v44, v35
	v_add_co_ci_u32_e64 v35, s1, v45, v36, s1
	v_lshlrev_b64 v[36:37], 3, v[42:43]
	v_add_co_u32 v42, s1, v44, v32
	v_add_co_ci_u32_e64 v43, s1, v45, v33, s1
	v_add_co_u32 v44, s1, v44, v36
	v_add_co_ci_u32_e64 v45, s1, v45, v37, s1
	s_clause 0x4
	global_load_dwordx2 v[40:41], v[21:22], off
	global_load_dwordx2 v[36:37], v[28:29], off
	;; [unrolled: 1-line block ×5, first 2 shown]
.LBB0_10:
	s_or_b32 exec_lo, exec_lo, s4
	s_waitcnt vmcnt(0)
	v_add_f32_e32 v42, v6, v28
	v_sub_f32_e32 v44, v7, v29
	v_add_f32_e32 v43, v4, v34
	v_sub_f32_e32 v46, v5, v35
	v_add_f32_e32 v45, v2, v32
	v_mul_f32_e32 v61, 0x3f3d2fb0, v42
	v_mul_f32_e32 v70, 0x3ee437d1, v42
	;; [unrolled: 1-line block ×4, first 2 shown]
	v_sub_f32_e32 v48, v3, v33
	v_fmamk_f32 v21, v44, 0xbf2c7751, v61
	v_fmamk_f32 v22, v44, 0xbf65296c, v70
	;; [unrolled: 1-line block ×4, first 2 shown]
	v_mul_f32_e32 v62, 0xbf1a4643, v45
	v_add_f32_e32 v21, v0, v21
	v_add_f32_e32 v22, v0, v22
	v_mul_f32_e32 v64, 0xbf7ba420, v45
	v_add_f32_e32 v47, v14, v36
	v_sub_f32_e32 v50, v15, v37
	v_add_f32_e32 v21, v21, v23
	v_add_f32_e32 v22, v22, v49
	v_fmamk_f32 v23, v48, 0xbf4c4adb, v62
	v_fmamk_f32 v51, v48, 0x3e3c28d5, v64
	v_mul_f32_e32 v55, 0xbf7ba420, v47
	v_mul_f32_e32 v69, 0xbe8c1d8e, v47
	v_add_f32_e32 v49, v12, v40
	v_add_f32_e32 v21, v23, v21
	;; [unrolled: 1-line block ×3, first 2 shown]
	v_fmamk_f32 v23, v50, 0xbe3c28d5, v55
	v_sub_f32_e32 v51, v13, v41
	v_mul_f32_e32 v58, 0xbf59a7d5, v49
	v_fmamk_f32 v54, v50, 0x3f763a35, v69
	v_add_f32_e32 v52, v10, v24
	v_mul_hi_u32 v20, 0xaaaaaaab, v17
	v_add_f32_e32 v21, v23, v21
	v_fmamk_f32 v23, v51, 0x3f06c442, v58
	v_sub_f32_e32 v53, v11, v25
	v_mul_f32_e32 v59, 0xbe8c1d8e, v52
	v_add_f32_e32 v22, v54, v22
	v_add_f32_e32 v54, v8, v26
	v_mul_f32_e32 v71, 0x3f3d2fb0, v49
	v_lshrrev_b32_e32 v20, 1, v20
	v_add_f32_e32 v21, v23, v21
	v_fmamk_f32 v23, v53, 0x3f763a35, v59
	v_sub_f32_e32 v57, v9, v27
	v_mul_f32_e32 v63, 0x3ee437d1, v54
	v_lshl_add_u32 v20, v20, 1, v20
	v_fmamk_f32 v56, v51, 0x3f2c7751, v71
	v_add_f32_e32 v21, v23, v21
	v_mul_f32_e32 v76, 0x3dbcf732, v42
	v_fmamk_f32 v23, v57, 0x3f65296c, v63
	v_mul_f32_e32 v83, 0xbe8c1d8e, v42
	v_sub_nc_u32_e32 v20, v17, v20
	v_add_f32_e32 v17, v56, v22
	v_mul_f32_e32 v79, 0xbf7ba420, v43
	v_add_f32_e32 v21, v23, v21
	v_fmamk_f32 v23, v44, 0xbf7ee86f, v76
	v_fmamk_f32 v56, v44, 0xbf763a35, v83
	v_mul_f32_e32 v86, 0xbf59a7d5, v43
	v_fmamk_f32 v66, v46, 0xbe3c28d5, v79
	v_mul_f32_e32 v80, 0xbe8c1d8e, v45
	v_add_f32_e32 v23, v0, v23
	v_add_f32_e32 v56, v0, v56
	v_fmamk_f32 v72, v46, 0x3f06c442, v86
	v_mul_f32_e32 v87, 0x3f3d2fb0, v45
	v_mul_f32_e32 v65, 0x3f6eb680, v52
	v_add_f32_e32 v23, v23, v66
	v_mul_f32_e32 v81, 0x3f6eb680, v47
	v_add_f32_e32 v56, v56, v72
	v_fmamk_f32 v72, v48, 0x3f763a35, v80
	v_fmamk_f32 v73, v48, 0x3f2c7751, v87
	v_mul_f32_e32 v88, 0x3ee437d1, v47
	v_fmamk_f32 v22, v53, 0xbeb8f4ab, v65
	v_mul_f32_e32 v67, 0x3dbcf732, v54
	v_add_f32_e32 v23, v72, v23
	v_add_f32_e32 v56, v73, v56
	v_fmamk_f32 v73, v50, 0x3eb8f4ab, v81
	v_fmamk_f32 v74, v50, 0xbf65296c, v88
	v_mul_f32_e32 v77, 0x3ee437d1, v49
	v_mul_f32_e32 v89, 0xbf7ba420, v49
	v_add_f32_e32 v17, v22, v17
	v_fmamk_f32 v22, v57, 0xbf7ee86f, v67
	v_add_f32_e32 v23, v73, v23
	v_add_f32_e32 v56, v74, v56
	v_fmamk_f32 v73, v51, 0xbf65296c, v77
	v_fmamk_f32 v74, v51, 0xbe3c28d5, v89
	v_mul_f32_e32 v78, 0xbf59a7d5, v52
	v_mul_f32_e32 v84, 0x3dbcf732, v52
	v_add_f32_e32 v22, v22, v17
	v_add_f32_e32 v17, v38, v30
	v_add_f32_e32 v23, v73, v23
	v_add_f32_e32 v56, v74, v56
	v_fmamk_f32 v74, v53, 0xbf06c442, v78
	v_fmamk_f32 v82, v53, 0x3f7ee86f, v84
	v_mul_f32_e32 v75, 0xbf1a4643, v54
	v_mul_f32_e32 v85, 0x3f6eb680, v54
	v_sub_f32_e32 v66, v39, v31
	v_mul_f32_e32 v72, 0x3f6eb680, v17
	v_mul_f32_e32 v73, 0xbf59a7d5, v17
	v_add_f32_e32 v23, v74, v23
	v_add_f32_e32 v56, v82, v56
	v_fmamk_f32 v91, v57, 0x3f4c4adb, v75
	v_fmamk_f32 v92, v57, 0xbeb8f4ab, v85
	v_mul_f32_e32 v74, 0x3f3d2fb0, v17
	v_mul_f32_e32 v82, 0xbf1a4643, v17
	v_fmamk_f32 v90, v66, 0x3eb8f4ab, v72
	v_fmamk_f32 v93, v66, 0xbf06c442, v73
	v_add_f32_e32 v23, v91, v23
	v_add_f32_e32 v56, v92, v56
	v_fmamk_f32 v91, v66, 0x3f2c7751, v74
	v_fmamk_f32 v92, v66, 0xbf4c4adb, v82
	v_mul_u32_u24_e32 v94, 0x3b8, v20
	v_add_f32_e32 v21, v90, v21
	v_add_f32_e32 v20, v93, v22
	;; [unrolled: 1-line block ×4, first 2 shown]
	v_lshlrev_b32_e32 v56, 2, v94
	s_and_saveexec_b32 s1, s0
	s_cbranch_execz .LBB0_12
; %bb.11:
	v_mul_f32_e32 v90, 0xbe3c28d5, v44
	v_mul_f32_e32 v91, 0x3eb8f4ab, v46
	;; [unrolled: 1-line block ×5, first 2 shown]
	v_fmamk_f32 v95, v42, 0xbf7ba420, v90
	v_fma_f32 v90, 0xbf7ba420, v42, -v90
	v_fmamk_f32 v98, v43, 0x3f6eb680, v91
	v_fma_f32 v91, 0x3f6eb680, v43, -v91
	v_fmamk_f32 v100, v45, 0xbf59a7d5, v94
	v_add_f32_e32 v95, v0, v95
	v_add_f32_e32 v90, v0, v90
	v_fma_f32 v94, 0xbf59a7d5, v45, -v94
	v_mul_f32_e32 v92, 0xbf06c442, v44
	v_mul_f32_e32 v99, 0x3f65296c, v53
	v_add_f32_e32 v95, v95, v98
	v_add_f32_e32 v90, v90, v91
	v_fmamk_f32 v91, v47, 0x3f3d2fb0, v96
	v_fma_f32 v96, 0x3f3d2fb0, v47, -v96
	v_mul_f32_e32 v93, 0x3f65296c, v46
	v_add_f32_e32 v95, v100, v95
	v_add_f32_e32 v90, v94, v90
	v_fmamk_f32 v94, v49, 0xbf1a4643, v97
	v_fmamk_f32 v100, v42, 0xbf59a7d5, v92
	v_fma_f32 v97, 0xbf1a4643, v49, -v97
	v_add_f32_e32 v91, v91, v95
	v_add_f32_e32 v90, v96, v90
	v_fmamk_f32 v96, v52, 0x3ee437d1, v99
	v_mul_f32_e32 v98, 0xbf763a35, v57
	v_fmamk_f32 v95, v43, 0x3ee437d1, v93
	v_add_f32_e32 v91, v94, v91
	v_fma_f32 v94, 0x3ee437d1, v52, -v99
	v_add_f32_e32 v90, v97, v90
	v_add_f32_e32 v97, v0, v100
	v_fmamk_f32 v99, v54, 0xbe8c1d8e, v98
	v_add_f32_e32 v91, v96, v91
	v_mul_f32_e32 v96, 0xbf7ee86f, v48
	v_add_f32_e32 v90, v94, v90
	v_add_f32_e32 v94, v97, v95
	v_mul_f32_e32 v97, 0x3f4c4adb, v50
	v_add_f32_e32 v91, v99, v91
	v_fmamk_f32 v95, v45, 0x3dbcf732, v96
	v_fma_f32 v92, 0xbf59a7d5, v42, -v92
	v_mul_f32_e32 v99, 0xbeb8f4ab, v51
	v_fma_f32 v93, 0x3ee437d1, v43, -v93
	v_mul_f32_e32 v101, 0xbe3c28d5, v53
	v_add_f32_e32 v94, v95, v94
	v_fmamk_f32 v95, v47, 0xbf1a4643, v97
	v_add_f32_e32 v92, v0, v92
	v_fma_f32 v98, 0xbe8c1d8e, v54, -v98
	v_mul_f32_e32 v102, 0xbeb8f4ab, v48
	v_mul_f32_e32 v104, 0xbf763a35, v66
	v_add_f32_e32 v94, v95, v94
	v_fmamk_f32 v95, v49, 0x3f6eb680, v99
	v_add_f32_e32 v92, v92, v93
	v_fma_f32 v93, 0x3dbcf732, v45, -v96
	v_mul_f32_e32 v96, 0xbf4c4adb, v44
	v_add_f32_e32 v90, v98, v90
	v_add_f32_e32 v94, v95, v94
	v_fmamk_f32 v95, v52, 0xbf7ba420, v101
	v_mul_f32_e32 v98, 0x3f7ee86f, v66
	v_add_f32_e32 v92, v93, v92
	v_fma_f32 v93, 0xbf1a4643, v47, -v97
	v_mul_f32_e32 v97, 0x3f763a35, v46
	v_add_f32_e32 v94, v95, v94
	v_fmamk_f32 v95, v42, 0xbf1a4643, v96
	v_fmamk_f32 v100, v17, 0x3dbcf732, v98
	v_add_f32_e32 v92, v93, v92
	v_fma_f32 v93, 0x3f6eb680, v49, -v99
	v_fmamk_f32 v99, v43, 0xbe8c1d8e, v97
	v_add_f32_e32 v95, v0, v95
	v_add_f32_e32 v91, v100, v91
	v_mul_f32_e32 v100, 0x3f2c7751, v57
	v_add_f32_e32 v92, v93, v92
	v_fma_f32 v93, 0xbf7ba420, v52, -v101
	v_add_f32_e32 v95, v95, v99
	v_fmamk_f32 v99, v45, 0x3f6eb680, v102
	v_mul_f32_e32 v101, 0xbf06c442, v50
	v_fmamk_f32 v103, v54, 0x3f3d2fb0, v100
	v_add_f32_e32 v92, v93, v92
	v_fma_f32 v93, 0x3f3d2fb0, v54, -v100
	v_add_f32_e32 v95, v99, v95
	v_fmamk_f32 v99, v47, 0xbf59a7d5, v101
	v_mul_f32_e32 v100, 0x3f7ee86f, v51
	v_fma_f32 v98, 0x3dbcf732, v17, -v98
	v_add_f32_e32 v92, v93, v92
	v_add_f32_e32 v94, v103, v94
	;; [unrolled: 1-line block ×3, first 2 shown]
	v_fmamk_f32 v95, v49, 0x3dbcf732, v100
	v_mul_f32_e32 v99, 0xbf2c7751, v53
	v_add_f32_e32 v90, v98, v90
	v_mul_f32_e32 v98, 0xbf763a35, v44
	v_fmamk_f32 v103, v17, 0xbe8c1d8e, v104
	v_add_f32_e32 v93, v95, v93
	v_fmamk_f32 v95, v52, 0x3f3d2fb0, v99
	v_fma_f32 v96, 0xbf1a4643, v42, -v96
	v_sub_f32_e32 v83, v83, v98
	v_add_f32_e32 v94, v103, v94
	v_mul_f32_e32 v103, 0xbe3c28d5, v57
	v_add_f32_e32 v93, v95, v93
	v_mul_f32_e32 v95, 0x3f06c442, v46
	v_add_f32_e32 v83, v0, v83
	v_add_f32_e32 v96, v0, v96
	v_fmamk_f32 v98, v54, 0xbf7ba420, v103
	v_fma_f32 v97, 0xbe8c1d8e, v43, -v97
	v_sub_f32_e32 v86, v86, v95
	v_mul_f32_e32 v95, 0x3f2c7751, v48
	v_fma_f32 v104, 0xbe8c1d8e, v17, -v104
	v_add_f32_e32 v93, v98, v93
	v_add_f32_e32 v96, v96, v97
	;; [unrolled: 1-line block ×3, first 2 shown]
	v_sub_f32_e32 v86, v87, v95
	v_mul_f32_e32 v87, 0xbf65296c, v50
	v_mul_f32_e32 v95, 0x3f65296c, v66
	v_fma_f32 v97, 0x3f6eb680, v45, -v102
	v_add_f32_e32 v92, v104, v92
	v_add_f32_e32 v83, v86, v83
	v_sub_f32_e32 v86, v88, v87
	v_mul_f32_e32 v87, 0xbe3c28d5, v51
	v_fmamk_f32 v88, v17, 0x3ee437d1, v95
	v_add_f32_e32 v96, v97, v96
	v_fma_f32 v97, 0xbf59a7d5, v47, -v101
	v_add_f32_e32 v83, v86, v83
	v_sub_f32_e32 v86, v89, v87
	v_mul_f32_e32 v87, 0x3f7ee86f, v53
	v_add_f32_e32 v88, v88, v93
	v_mul_f32_e32 v93, 0xbf7ee86f, v44
	v_add_f32_e32 v96, v97, v96
	v_add_f32_e32 v83, v86, v83
	v_sub_f32_e32 v84, v84, v87
	v_mul_f32_e32 v86, 0xbeb8f4ab, v57
	v_mul_f32_e32 v87, 0xbe3c28d5, v46
	v_sub_f32_e32 v76, v76, v93
	v_fma_f32 v97, 0x3dbcf732, v49, -v100
	v_add_f32_e32 v83, v84, v83
	v_sub_f32_e32 v84, v85, v86
	v_sub_f32_e32 v79, v79, v87
	v_add_f32_e32 v76, v0, v76
	v_mul_f32_e32 v85, 0x3f763a35, v48
	v_mul_f32_e32 v87, 0xbf4c4adb, v66
	v_add_f32_e32 v83, v84, v83
	v_mul_f32_e32 v84, 0xbf2c7751, v44
	v_add_f32_e32 v76, v76, v79
	v_sub_f32_e32 v79, v80, v85
	v_mul_f32_e32 v80, 0x3eb8f4ab, v50
	v_add_f32_e32 v89, v97, v96
	v_fma_f32 v93, 0x3f3d2fb0, v52, -v99
	v_sub_f32_e32 v82, v82, v87
	v_add_f32_e32 v76, v79, v76
	v_sub_f32_e32 v80, v81, v80
	v_mul_f32_e32 v81, 0xbf7ee86f, v46
	v_sub_f32_e32 v61, v61, v84
	v_add_f32_e32 v86, v93, v89
	v_fma_f32 v85, 0xbf7ba420, v54, -v103
	v_mul_f32_e32 v79, 0xbf65296c, v44
	v_add_f32_e32 v82, v82, v83
	v_mul_f32_e32 v83, 0xbf65296c, v51
	v_add_f32_e32 v76, v80, v76
	v_mul_f32_e32 v80, 0xbf4c4adb, v48
	v_sub_f32_e32 v60, v60, v81
	v_add_f32_e32 v61, v0, v61
	v_add_f32_e32 v85, v85, v86
	v_mul_f32_e32 v86, 0xbf4c4adb, v46
	v_sub_f32_e32 v70, v70, v79
	v_sub_f32_e32 v77, v77, v83
	v_add_f32_e32 v60, v61, v60
	v_sub_f32_e32 v62, v62, v80
	v_mul_f32_e32 v83, 0xbf06c442, v53
	v_sub_f32_e32 v68, v68, v86
	v_mul_f32_e32 v86, 0xbe3c28d5, v50
	v_add_f32_e32 v70, v0, v70
	v_add_f32_e32 v76, v77, v76
	v_mul_f32_e32 v77, 0x3f763a35, v50
	v_add_f32_e32 v60, v62, v60
	v_add_f32_e32 v62, v0, v6
	v_sub_f32_e32 v78, v78, v83
	v_mul_f32_e32 v83, 0x3f06c442, v51
	v_add_f32_e32 v68, v70, v68
	v_mul_f32_e32 v70, 0x3f2c7751, v51
	v_sub_f32_e32 v69, v69, v77
	v_mul_f32_e32 v77, 0x3f4c4adb, v57
	v_sub_f32_e32 v55, v55, v86
	v_add_f32_e32 v62, v62, v4
	v_mul_f32_e32 v84, 0x3f763a35, v53
	v_sub_f32_e32 v70, v71, v70
	v_add_f32_e32 v71, v78, v76
	v_add_f32_e32 v55, v55, v60
	v_sub_f32_e32 v58, v58, v83
	v_sub_f32_e32 v60, v75, v77
	v_add_f32_e32 v62, v62, v2
	v_mul_f32_e32 v81, 0x3f65296c, v57
	v_mul_f32_e32 v44, 0xbeb8f4ab, v44
	v_add_f32_e32 v55, v58, v55
	v_sub_f32_e32 v58, v59, v84
	v_add_f32_e32 v59, v60, v71
	v_add_f32_e32 v60, v62, v14
	v_mul_f32_e32 v46, 0xbf2c7751, v46
	v_mul_f32_e32 v79, 0x3e3c28d5, v48
	v_add_f32_e32 v55, v58, v55
	v_sub_f32_e32 v58, v63, v81
	v_add_f32_e32 v60, v60, v12
	v_mul_f32_e32 v48, 0xbf65296c, v48
	v_mul_f32_e32 v50, 0xbf7ee86f, v50
	v_sub_f32_e32 v64, v64, v79
	v_add_f32_e32 v55, v58, v55
	v_add_f32_e32 v58, v60, v10
	v_fma_f32 v60, 0x3f6eb680, v42, -v44
	v_fmamk_f32 v42, v42, 0x3f6eb680, v44
	v_add_f32_e32 v64, v64, v68
	v_mul_f32_e32 v79, 0xbeb8f4ab, v53
	v_add_f32_e32 v44, v58, v8
	v_add_f32_e32 v58, v0, v60
	;; [unrolled: 1-line block ×3, first 2 shown]
	v_fma_f32 v60, 0x3f3d2fb0, v43, -v46
	v_fmamk_f32 v43, v43, 0x3f3d2fb0, v46
	v_add_f32_e32 v42, v44, v38
	v_fma_f32 v46, 0x3ee437d1, v45, -v48
	v_add_f32_e32 v64, v69, v64
	v_add_f32_e32 v44, v58, v60
	;; [unrolled: 1-line block ×4, first 2 shown]
	v_fmamk_f32 v43, v45, 0x3ee437d1, v48
	v_fma_f32 v45, 0x3dbcf732, v47, -v50
	v_add_f32_e32 v44, v46, v44
	v_mul_f32_e32 v46, 0xbf763a35, v51
	v_add_f32_e32 v42, v42, v26
	v_add_f32_e32 v0, v43, v0
	v_fmamk_f32 v43, v47, 0x3dbcf732, v50
	v_add_f32_e32 v44, v45, v44
	v_fma_f32 v45, 0xbe8c1d8e, v49, -v46
	v_add_f32_e32 v42, v42, v24
	v_mul_f32_e32 v47, 0xbf4c4adb, v53
	v_add_f32_e32 v0, v43, v0
	v_fmamk_f32 v43, v49, 0xbe8c1d8e, v46
	v_add_f32_e32 v44, v45, v44
	v_add_f32_e32 v42, v42, v40
	v_fma_f32 v45, 0xbf1a4643, v52, -v47
	v_mul_f32_e32 v46, 0xbf06c442, v57
	v_mul_f32_e32 v68, 0xbf7ee86f, v57
	v_add_f32_e32 v64, v70, v64
	v_add_f32_e32 v42, v42, v36
	v_sub_f32_e32 v65, v65, v79
	v_add_f32_e32 v0, v43, v0
	v_fmamk_f32 v43, v52, 0xbf1a4643, v47
	v_add_f32_e32 v44, v45, v44
	v_fma_f32 v45, 0xbf59a7d5, v54, -v46
	v_mul_f32_e32 v47, 0xbe3c28d5, v66
	v_add_f32_e32 v42, v42, v32
	v_mul_f32_e32 v61, 0x3eb8f4ab, v66
	v_mul_f32_e32 v80, 0xbf06c442, v66
	v_add_f32_e32 v64, v65, v64
	v_sub_f32_e32 v65, v67, v68
	v_mul_f32_e32 v69, 0x3f2c7751, v66
	v_add_f32_e32 v0, v43, v0
	v_fmamk_f32 v43, v54, 0xbf59a7d5, v46
	v_add_f32_e32 v44, v45, v44
	v_fma_f32 v45, 0xbf7ba420, v17, -v47
	v_add_f32_e32 v42, v42, v34
	v_mul_u32_u24_e32 v46, 0x44, v16
	v_add_f32_e32 v62, v65, v64
	v_sub_f32_e32 v64, v73, v80
	v_sub_f32_e32 v61, v72, v61
	;; [unrolled: 1-line block ×3, first 2 shown]
	v_fma_f32 v87, 0x3ee437d1, v17, -v95
	v_add_f32_e32 v0, v43, v0
	v_fmamk_f32 v17, v17, 0xbf7ba420, v47
	v_add_f32_e32 v43, v45, v44
	v_add_f32_e32 v42, v28, v42
	v_add3_u32 v44, 0, v46, v56
	v_add_f32_e32 v62, v64, v62
	v_add_f32_e32 v45, v61, v55
	;; [unrolled: 1-line block ×5, first 2 shown]
	ds_write2_b32 v44, v42, v43 offset1:1
	ds_write2_b32 v44, v45, v62 offset0:2 offset1:3
	ds_write2_b32 v44, v46, v82 offset0:4 offset1:5
	;; [unrolled: 1-line block ×7, first 2 shown]
	ds_write_b32 v44, v0 offset:64
.LBB0_12:
	s_or_b32 exec_lo, exec_lo, s1
	v_lshlrev_b32_e32 v17, 2, v16
	s_waitcnt lgkmcnt(0)
	s_barrier
	buffer_gl0_inv
	v_cmp_gt_u32_e64 s1, 34, v16
	v_add_nc_u32_e32 v0, 0, v17
	v_add3_u32 v57, 0, v56, v17
	v_add_nc_u32_e32 v58, v0, v56
	v_add_nc_u32_e32 v17, 0x200, v58
	;; [unrolled: 1-line block ×5, first 2 shown]
	ds_read2_b32 v[46:47], v58 offset0:68 offset1:136
	ds_read2_b32 v[50:51], v17 offset0:110 offset1:178
	;; [unrolled: 1-line block ×5, first 2 shown]
	ds_read_b32 v17, v57
	ds_read_b32 v59, v58 offset:3400
	s_and_saveexec_b32 s4, s1
	s_cbranch_execz .LBB0_14
; %bb.13:
	v_add_nc_u32_e32 v20, 0x300, v58
	v_add_nc_u32_e32 v21, 0xa80, v58
	ds_read2_b32 v[22:23], v20 offset0:12 offset1:250
	ds_read2_b32 v[20:21], v21 offset0:8 offset1:246
.LBB0_14:
	s_or_b32 exec_lo, exec_lo, s4
	v_sub_f32_e32 v89, v6, v28
	v_add_f32_e32 v84, v7, v29
	v_sub_f32_e32 v78, v4, v34
	v_add_f32_e32 v74, v5, v35
	v_sub_f32_e32 v73, v2, v32
	v_mul_f32_e32 v91, 0xbf2c7751, v89
	v_mul_f32_e32 v92, 0xbf65296c, v89
	;; [unrolled: 1-line block ×5, first 2 shown]
	v_fma_f32 v4, 0x3f3d2fb0, v84, -v91
	v_fma_f32 v6, 0x3ee437d1, v84, -v92
	;; [unrolled: 1-line block ×4, first 2 shown]
	v_mul_f32_e32 v88, 0xbf4c4adb, v78
	v_mul_f32_e32 v86, 0xbe3c28d5, v78
	;; [unrolled: 1-line block ×3, first 2 shown]
	v_add_f32_e32 v4, v1, v4
	v_add_f32_e32 v6, v1, v6
	;; [unrolled: 1-line block ×3, first 2 shown]
	v_fma_f32 v52, 0x3dbcf732, v74, -v85
	v_add_f32_e32 v34, v1, v34
	v_fma_f32 v53, 0xbf1a4643, v74, -v88
	v_fma_f32 v54, 0xbf7ba420, v74, -v86
	;; [unrolled: 1-line block ×3, first 2 shown]
	v_add_f32_e32 v72, v3, v33
	v_mul_f32_e32 v82, 0xbf4c4adb, v73
	v_mul_f32_e32 v83, 0x3e3c28d5, v73
	;; [unrolled: 1-line block ×3, first 2 shown]
	v_sub_f32_e32 v67, v14, v36
	v_add_f32_e32 v4, v4, v52
	v_add_f32_e32 v6, v6, v53
	;; [unrolled: 1-line block ×4, first 2 shown]
	v_fma_f32 v32, 0xbf1a4643, v72, -v82
	v_fma_f32 v14, 0xbf7ba420, v72, -v83
	;; [unrolled: 1-line block ×3, first 2 shown]
	v_add_f32_e32 v65, v15, v37
	v_mul_f32_e32 v75, 0xbe3c28d5, v67
	v_sub_f32_e32 v61, v12, v40
	v_mul_f32_e32 v79, 0x3f763a35, v67
	v_mul_f32_e32 v77, 0x3eb8f4ab, v67
	v_add_f32_e32 v4, v32, v4
	v_add_f32_e32 v6, v14, v6
	;; [unrolled: 1-line block ×3, first 2 shown]
	v_fma_f32 v28, 0xbf7ba420, v65, -v75
	v_add_f32_e32 v60, v13, v41
	v_mul_f32_e32 v68, 0x3f06c442, v61
	v_fma_f32 v12, 0xbe8c1d8e, v65, -v79
	v_fma_f32 v32, 0x3f6eb680, v65, -v77
	v_mul_f32_e32 v81, 0x3f2c7751, v73
	v_add_f32_e32 v4, v28, v4
	v_fma_f32 v28, 0xbf59a7d5, v60, -v68
	v_add_f32_e32 v6, v12, v6
	v_add_f32_e32 v12, v32, v14
	v_mul_f32_e32 v69, 0x3f2c7751, v61
	v_sub_f32_e32 v32, v10, v24
	v_mul_f32_e32 v71, 0xbf65296c, v61
	v_fma_f32 v36, 0x3f3d2fb0, v72, -v81
	v_mul_f32_e32 v76, 0xbf65296c, v67
	v_add_f32_e32 v4, v28, v4
	v_fma_f32 v10, 0x3f3d2fb0, v60, -v69
	v_add_f32_e32 v28, v11, v25
	v_mul_f32_e32 v62, 0x3f763a35, v32
	v_fma_f32 v14, 0x3ee437d1, v60, -v71
	v_mul_f32_e32 v64, 0xbeb8f4ab, v32
	v_add_f32_e32 v2, v36, v2
	v_fma_f32 v34, 0x3ee437d1, v65, -v76
	v_mul_f32_e32 v70, 0xbe3c28d5, v61
	v_add_f32_e32 v6, v10, v6
	v_fma_f32 v10, 0xbe8c1d8e, v28, -v62
	v_add_f32_e32 v12, v14, v12
	v_fma_f32 v14, 0x3f6eb680, v28, -v64
	v_mul_f32_e32 v63, 0xbf06c442, v32
	v_sub_f32_e32 v8, v8, v26
	v_add_f32_e32 v2, v34, v2
	v_fma_f32 v24, 0xbf7ba420, v60, -v70
	v_add_f32_e32 v4, v10, v4
	v_mul_f32_e32 v66, 0x3f7ee86f, v32
	v_add_f32_e32 v10, v14, v6
	v_fma_f32 v14, 0xbf59a7d5, v28, -v63
	v_add_f32_e32 v6, v9, v27
	v_mul_f32_e32 v34, 0x3f65296c, v8
	v_add_f32_e32 v2, v24, v2
	v_fma_f32 v24, 0x3dbcf732, v28, -v66
	v_mul_f32_e32 v40, 0xbf7ee86f, v8
	v_mul_f32_e32 v26, 0x3f4c4adb, v8
	v_add_f32_e32 v12, v14, v12
	v_fma_f32 v14, 0x3ee437d1, v6, -v34
	v_add_f32_e32 v52, v24, v2
	v_fma_f32 v2, 0x3dbcf732, v6, -v40
	v_fma_f32 v24, 0xbf1a4643, v6, -v26
	v_mul_f32_e32 v36, 0xbeb8f4ab, v8
	v_add_f32_e32 v53, v14, v4
	v_sub_f32_e32 v4, v38, v30
	v_add_f32_e32 v30, v2, v10
	v_add_f32_e32 v38, v24, v12
	v_fma_f32 v54, 0x3f6eb680, v6, -v36
	v_add_f32_e32 v2, v39, v31
	v_mul_f32_e32 v14, 0x3eb8f4ab, v4
	v_mul_f32_e32 v24, 0xbf06c442, v4
	;; [unrolled: 1-line block ×4, first 2 shown]
	v_add_f32_e32 v52, v54, v52
	v_fma_f32 v54, 0x3f6eb680, v2, -v14
	v_fma_f32 v94, 0xbf59a7d5, v2, -v24
	v_fma_f32 v95, 0x3f3d2fb0, v2, -v10
	v_fma_f32 v96, 0xbf1a4643, v2, -v12
	s_waitcnt lgkmcnt(0)
	v_add_f32_e32 v55, v54, v53
	v_add_f32_e32 v54, v94, v30
	;; [unrolled: 1-line block ×4, first 2 shown]
	s_barrier
	buffer_gl0_inv
	s_and_saveexec_b32 s4, s0
	s_cbranch_execz .LBB0_16
; %bb.15:
	v_add_f32_e32 v7, v1, v7
	v_mul_f32_e32 v30, 0x3f3d2fb0, v84
	v_mul_f32_e32 v38, 0x3ee437d1, v84
	;; [unrolled: 1-line block ×4, first 2 shown]
	v_add_f32_e32 v5, v7, v5
	v_mul_f32_e32 v117, 0xbf4c4adb, v89
	v_mul_f32_e32 v118, 0xbf06c442, v89
	;; [unrolled: 1-line block ×4, first 2 shown]
	v_add_f32_e32 v3, v5, v3
	v_add_f32_e32 v30, v30, v91
	;; [unrolled: 1-line block ×6, first 2 shown]
	v_fmamk_f32 v92, v84, 0xbf1a4643, v117
	v_fmamk_f32 v93, v84, 0xbf59a7d5, v118
	v_fma_f32 v94, 0xbf59a7d5, v84, -v118
	v_mul_f32_e32 v97, 0xbf7ba420, v74
	v_add_f32_e32 v3, v3, v13
	v_add_f32_e32 v30, v1, v30
	;; [unrolled: 1-line block ×3, first 2 shown]
	v_mul_f32_e32 v98, 0xbf59a7d5, v74
	v_mul_f32_e32 v5, 0xbf1a4643, v72
	v_add_f32_e32 v3, v3, v11
	v_mul_f32_e32 v99, 0xbf7ba420, v72
	v_add_f32_e32 v7, v30, v7
	v_mul_f32_e32 v100, 0xbe8c1d8e, v72
	v_mul_f32_e32 v101, 0x3f3d2fb0, v72
	v_add_f32_e32 v3, v3, v9
	v_add_f32_e32 v5, v5, v82
	v_mul_f32_e32 v15, 0xbf7ba420, v65
	v_mul_f32_e32 v102, 0xbe8c1d8e, v65
	v_mul_f32_e32 v103, 0x3f6eb680, v65
	v_add_f32_e32 v3, v3, v39
	v_add_f32_e32 v5, v5, v7
	v_mul_f32_e32 v104, 0x3ee437d1, v65
	v_add_f32_e32 v15, v15, v75
	v_mul_f32_e32 v13, 0xbf59a7d5, v60
	;; [unrolled: 2-line block ×3, first 2 shown]
	v_mul_f32_e32 v89, 0xbe3c28d5, v89
	v_add_f32_e32 v5, v15, v5
	v_add_f32_e32 v15, v104, v76
	;; [unrolled: 1-line block ×3, first 2 shown]
	v_mul_f32_e32 v27, 0xbf2c7751, v78
	v_fmamk_f32 v95, v84, 0xbf7ba420, v89
	v_mul_f32_e32 v105, 0x3f3d2fb0, v60
	v_mul_f32_e32 v106, 0x3ee437d1, v60
	v_add_f32_e32 v3, v3, v25
	v_fmamk_f32 v25, v84, 0x3f6eb680, v31
	v_fma_f32 v31, 0x3f6eb680, v84, -v31
	v_mul_f32_e32 v107, 0xbf7ba420, v60
	v_add_f32_e32 v13, v13, v68
	v_add_f32_e32 v3, v3, v41
	v_fma_f32 v41, 0xbf1a4643, v84, -v117
	v_add_f32_e32 v31, v1, v31
	v_add_f32_e32 v25, v1, v25
	;; [unrolled: 1-line block ×4, first 2 shown]
	v_fma_f32 v37, 0xbf7ba420, v84, -v89
	v_fmamk_f32 v84, v74, 0x3f3d2fb0, v27
	v_fma_f32 v27, 0x3f3d2fb0, v74, -v27
	v_add_f32_e32 v89, v1, v90
	v_add_f32_e32 v3, v3, v33
	;; [unrolled: 1-line block ×10, first 2 shown]
	v_mul_f32_e32 v31, 0x3f763a35, v78
	v_add_f32_e32 v3, v29, v3
	v_add_f32_e32 v29, v1, v95
	;; [unrolled: 1-line block ×7, first 2 shown]
	v_mul_f32_e32 v11, 0xbe8c1d8e, v28
	v_add_f32_e32 v30, v33, v37
	v_fmamk_f32 v37, v74, 0xbe8c1d8e, v31
	v_fma_f32 v31, 0xbe8c1d8e, v74, -v31
	v_add_f32_e32 v38, v38, v84
	v_mul_f32_e32 v84, 0x3f65296c, v78
	v_add_f32_e32 v33, v98, v87
	v_add_f32_e32 v35, v35, v37
	v_mul_f32_e32 v37, 0x3eb8f4ab, v78
	v_add_f32_e32 v31, v41, v31
	v_mul_f32_e32 v41, 0xbf65296c, v73
	v_fmamk_f32 v78, v74, 0x3ee437d1, v84
	v_fma_f32 v84, 0x3ee437d1, v74, -v84
	v_fmamk_f32 v85, v74, 0x3f6eb680, v37
	v_fma_f32 v37, 0x3f6eb680, v74, -v37
	;; [unrolled: 2-line block ×3, first 2 shown]
	v_add_f32_e32 v33, v89, v33
	v_add_f32_e32 v78, v90, v78
	v_add_f32_e32 v1, v1, v37
	v_add_f32_e32 v37, v99, v83
	v_add_f32_e32 v27, v41, v27
	v_mul_f32_e32 v41, 0xbeb8f4ab, v73
	v_add_f32_e32 v25, v74, v25
	v_add_f32_e32 v74, v100, v80
	;; [unrolled: 1-line block ×4, first 2 shown]
	v_fmamk_f32 v37, v72, 0x3f6eb680, v41
	v_fma_f32 v41, 0x3f6eb680, v72, -v41
	v_add_f32_e32 v38, v74, v38
	v_mul_f32_e32 v74, 0xbf7ee86f, v73
	v_add_f32_e32 v30, v30, v33
	v_add_f32_e32 v33, v37, v35
	v_mul_f32_e32 v35, 0xbf06c442, v73
	v_add_f32_e32 v31, v41, v31
	v_mul_f32_e32 v41, 0xbf7ee86f, v67
	v_fmamk_f32 v37, v72, 0x3dbcf732, v74
	v_fma_f32 v73, 0x3dbcf732, v72, -v74
	v_fmamk_f32 v74, v72, 0xbf59a7d5, v35
	v_fma_f32 v35, 0xbf59a7d5, v72, -v35
	;; [unrolled: 2-line block ×3, first 2 shown]
	v_add_f32_e32 v37, v37, v78
	v_add_f32_e32 v15, v15, v30
	;; [unrolled: 1-line block ×6, first 2 shown]
	v_mul_f32_e32 v41, 0xbf06c442, v67
	v_add_f32_e32 v72, v103, v77
	v_add_f32_e32 v13, v13, v15
	;; [unrolled: 1-line block ×3, first 2 shown]
	v_mul_f32_e32 v108, 0x3f6eb680, v28
	v_fmamk_f32 v35, v65, 0xbf59a7d5, v41
	v_add_f32_e32 v38, v72, v38
	v_mul_f32_e32 v72, 0x3f4c4adb, v67
	v_fma_f32 v41, 0xbf59a7d5, v65, -v41
	v_mul_f32_e32 v109, 0xbf59a7d5, v28
	v_add_f32_e32 v30, v35, v33
	v_mul_f32_e32 v33, 0x3f2c7751, v67
	v_fmamk_f32 v35, v65, 0xbf1a4643, v72
	v_add_f32_e32 v31, v41, v31
	v_mul_f32_e32 v41, 0xbf763a35, v61
	v_fma_f32 v67, 0xbf1a4643, v65, -v72
	v_fmamk_f32 v72, v65, 0x3f3d2fb0, v33
	v_add_f32_e32 v35, v35, v37
	v_fma_f32 v33, 0x3f3d2fb0, v65, -v33
	v_fmamk_f32 v37, v60, 0xbe8c1d8e, v41
	v_fma_f32 v41, 0xbe8c1d8e, v60, -v41
	v_add_f32_e32 v84, v91, v84
	v_mul_f32_e32 v110, 0x3dbcf732, v28
	v_add_f32_e32 v1, v33, v1
	v_add_f32_e32 v25, v37, v25
	;; [unrolled: 1-line block ×4, first 2 shown]
	v_mul_f32_e32 v37, 0x3f7ee86f, v61
	v_add_f32_e32 v41, v106, v71
	v_add_f32_e32 v73, v73, v84
	;; [unrolled: 1-line block ×4, first 2 shown]
	v_fmamk_f32 v33, v60, 0x3dbcf732, v37
	v_add_f32_e32 v38, v41, v38
	v_mul_f32_e32 v41, 0xbeb8f4ab, v61
	v_fma_f32 v37, 0x3dbcf732, v60, -v37
	v_add_f32_e32 v65, v67, v73
	v_add_f32_e32 v15, v33, v30
	v_mul_f32_e32 v30, 0xbf4c4adb, v61
	v_fmamk_f32 v33, v60, 0x3f6eb680, v41
	v_add_f32_e32 v31, v37, v31
	v_mul_f32_e32 v37, 0xbf4c4adb, v32
	v_fma_f32 v41, 0x3f6eb680, v60, -v41
	v_fmamk_f32 v61, v60, 0xbf1a4643, v30
	v_add_f32_e32 v33, v33, v35
	v_fma_f32 v30, 0xbf1a4643, v60, -v30
	v_fmamk_f32 v35, v28, 0xbf1a4643, v37
	v_fma_f32 v37, 0xbf1a4643, v28, -v37
	v_add_f32_e32 v5, v11, v5
	v_add_f32_e32 v11, v110, v66
	v_add_f32_e32 v1, v30, v1
	v_add_f32_e32 v25, v35, v25
	v_add_f32_e32 v30, v108, v64
	v_add_f32_e32 v27, v37, v27
	v_mul_f32_e32 v35, 0xbf2c7751, v32
	v_add_f32_e32 v37, v109, v63
	v_add_f32_e32 v41, v41, v65
	;; [unrolled: 1-line block ×4, first 2 shown]
	v_fmamk_f32 v30, v28, 0x3f3d2fb0, v35
	v_add_f32_e32 v37, v37, v38
	v_mul_f32_e32 v38, 0xbe3c28d5, v32
	v_fma_f32 v35, 0x3f3d2fb0, v28, -v35
	v_mul_f32_e32 v9, 0x3ee437d1, v6
	v_add_f32_e32 v13, v30, v15
	v_mul_f32_e32 v15, 0x3f65296c, v32
	v_fma_f32 v32, 0xbf7ba420, v28, -v38
	v_add_f32_e32 v31, v35, v31
	v_mul_f32_e32 v35, 0xbf06c442, v8
	v_mul_f32_e32 v111, 0x3dbcf732, v6
	v_fmamk_f32 v30, v28, 0xbf7ba420, v38
	v_fmamk_f32 v38, v28, 0x3ee437d1, v15
	v_fma_f32 v15, 0x3ee437d1, v28, -v15
	v_add_f32_e32 v28, v32, v41
	v_fmamk_f32 v32, v6, 0xbf59a7d5, v35
	v_mul_f32_e32 v112, 0xbf1a4643, v6
	v_mul_f32_e32 v113, 0x3f6eb680, v6
	v_add_f32_e32 v30, v30, v33
	v_fma_f32 v33, 0xbf59a7d5, v6, -v35
	v_add_f32_e32 v1, v15, v1
	v_add_f32_e32 v9, v9, v34
	;; [unrolled: 1-line block ×4, first 2 shown]
	v_mul_f32_e32 v32, 0xbe3c28d5, v8
	v_add_f32_e32 v27, v33, v27
	v_add_f32_e32 v5, v9, v5
	;; [unrolled: 1-line block ×5, first 2 shown]
	v_fmamk_f32 v26, v6, 0xbf7ba420, v32
	v_mul_f32_e32 v33, 0x3f2c7751, v8
	v_fma_f32 v32, 0xbf7ba420, v6, -v32
	v_mul_f32_e32 v8, 0xbf763a35, v8
	v_add_f32_e32 v11, v25, v11
	v_add_f32_e32 v13, v26, v13
	v_fmamk_f32 v25, v6, 0x3f3d2fb0, v33
	v_add_f32_e32 v26, v32, v31
	v_mul_f32_e32 v31, 0xbe3c28d5, v4
	v_add_f32_e32 v29, v29, v85
	v_mul_f32_e32 v39, 0x3f6eb680, v2
	v_fma_f32 v32, 0x3f3d2fb0, v6, -v33
	v_add_f32_e32 v25, v25, v30
	v_fmamk_f32 v30, v6, 0xbe8c1d8e, v8
	v_fma_f32 v6, 0xbe8c1d8e, v6, -v8
	v_fmamk_f32 v8, v2, 0xbf7ba420, v31
	v_add_f32_e32 v29, v74, v29
	v_mul_f32_e32 v114, 0xbf59a7d5, v2
	v_mul_f32_e32 v116, 0xbf1a4643, v2
	v_add_f32_e32 v1, v6, v1
	v_add_f32_e32 v6, v8, v15
	;; [unrolled: 1-line block ×5, first 2 shown]
	v_mul_f32_e32 v24, 0x3f65296c, v4
	v_mul_f32_e32 v115, 0x3f3d2fb0, v2
	v_add_f32_e32 v5, v8, v5
	v_add_f32_e32 v8, v116, v12
	v_add_f32_e32 v29, v61, v29
	v_fmamk_f32 v12, v2, 0x3ee437d1, v24
	v_add_f32_e32 v9, v9, v37
	v_add_f32_e32 v10, v115, v10
	;; [unrolled: 1-line block ×3, first 2 shown]
	v_mul_f32_e32 v11, 0xbf763a35, v4
	v_add_f32_e32 v29, v38, v29
	v_mul_f32_e32 v4, 0x3f7ee86f, v4
	v_add_f32_e32 v12, v12, v13
	v_lshlrev_b32_e32 v13, 6, v16
	v_add_f32_e32 v7, v15, v7
	v_fmamk_f32 v15, v2, 0xbe8c1d8e, v11
	v_fma_f32 v31, 0xbf7ba420, v2, -v31
	v_add_f32_e32 v29, v30, v29
	v_add_f32_e32 v9, v10, v9
	v_fma_f32 v10, 0x3ee437d1, v2, -v24
	v_fma_f32 v11, 0xbe8c1d8e, v2, -v11
	v_fmamk_f32 v24, v2, 0x3dbcf732, v4
	v_fma_f32 v2, 0x3dbcf732, v2, -v4
	v_add_f32_e32 v28, v32, v28
	v_add3_u32 v0, v0, v13, v56
	v_add_f32_e32 v4, v15, v25
	v_add_f32_e32 v13, v24, v29
	;; [unrolled: 1-line block ×6, first 2 shown]
	ds_write2_b32 v0, v3, v6 offset1:1
	ds_write2_b32 v0, v5, v7 offset0:2 offset1:3
	ds_write2_b32 v0, v9, v8 offset0:4 offset1:5
	ds_write2_b32 v0, v12, v4 offset0:6 offset1:7
	ds_write2_b32 v0, v13, v1 offset0:8 offset1:9
	ds_write2_b32 v0, v11, v10 offset0:10 offset1:11
	ds_write2_b32 v0, v52, v53 offset0:12 offset1:13
	ds_write2_b32 v0, v54, v55 offset0:14 offset1:15
	ds_write_b32 v0, v14 offset:64
.LBB0_16:
	s_or_b32 exec_lo, exec_lo, s4
	v_add_nc_u32_e32 v0, 0x200, v58
	v_add_nc_u32_e32 v1, 0x400, v58
	;; [unrolled: 1-line block ×4, first 2 shown]
	s_waitcnt lgkmcnt(0)
	s_barrier
	buffer_gl0_inv
	ds_read2_b32 v[32:33], v0 offset0:110 offset1:178
	ds_read2_b32 v[28:29], v1 offset0:118 offset1:220
	;; [unrolled: 1-line block ×5, first 2 shown]
	ds_read_b32 v38, v57
	ds_read_b32 v40, v58 offset:3400
	s_and_saveexec_b32 s0, s1
	s_cbranch_execz .LBB0_18
; %bb.17:
	v_add_nc_u32_e32 v0, 0x300, v58
	v_add_nc_u32_e32 v1, 0xa80, v58
	ds_read2_b32 v[52:53], v0 offset0:12 offset1:250
	ds_read2_b32 v[54:55], v1 offset0:8 offset1:246
.LBB0_18:
	s_or_b32 exec_lo, exec_lo, s0
	v_and_b32_e32 v0, 0xff, v16
	v_add_nc_u32_e32 v36, 0xcc, v16
	v_mov_b32_e32 v1, 0xf0f1
	v_add_nc_u32_e32 v34, 0x44, v16
	v_add_nc_u32_e32 v35, 0x88, v16
	v_mul_lo_u16 v0, 0xf1, v0
	v_mov_b32_e32 v4, 3
	v_mul_u32_u24_sdwa v1, v36, v1 dst_sel:DWORD dst_unused:UNUSED_PAD src0_sel:WORD_0 src1_sel:DWORD
	v_and_b32_e32 v37, 0xff, v35
	v_lshrrev_b16 v41, 12, v0
	v_and_b32_e32 v0, 0xff, v34
	v_lshrrev_b32_e32 v1, 20, v1
	v_mul_lo_u16 v2, v41, 17
	v_mul_lo_u16 v0, 0xf1, v0
	;; [unrolled: 1-line block ×3, first 2 shown]
	v_and_b32_e32 v41, 0xffff, v41
	v_sub_nc_u16 v60, v16, v2
	v_mul_lo_u16 v2, 0xf1, v37
	v_lshrrev_b16 v61, 12, v0
	v_sub_nc_u16 v39, v36, v1
	v_mad_u32_u24 v74, 0x110, v41, 0
	v_mul_u32_u24_sdwa v0, v60, v4 dst_sel:DWORD dst_unused:UNUSED_PAD src0_sel:BYTE_0 src1_sel:DWORD
	v_lshrrev_b16 v62, 12, v2
	v_mul_lo_u16 v1, v61, 17
	v_mul_u32_u24_sdwa v2, v39, v4 dst_sel:DWORD dst_unused:UNUSED_PAD src0_sel:WORD_0 src1_sel:DWORD
	v_and_b32_e32 v61, 0xffff, v61
	v_lshlrev_b32_e32 v0, 3, v0
	v_mul_lo_u16 v3, v62, 17
	v_sub_nc_u16 v63, v34, v1
	v_lshlrev_b32_e32 v5, 3, v2
	v_and_b32_e32 v62, 0xffff, v62
	s_clause 0x1
	global_load_dwordx4 v[12:15], v0, s[8:9]
	global_load_dwordx2 v[65:66], v0, s[8:9] offset:16
	v_sub_nc_u16 v73, v35, v3
	v_mul_u32_u24_sdwa v6, v63, v4 dst_sel:DWORD dst_unused:UNUSED_PAD src0_sel:BYTE_0 src1_sel:DWORD
	s_clause 0x1
	global_load_dwordx4 v[0:3], v5, s[8:9]
	global_load_dwordx2 v[67:68], v5, s[8:9] offset:16
	v_mad_u32_u24 v61, 0x110, v61, 0
	v_mad_u32_u24 v75, 0x110, v62, 0
	v_mul_u32_u24_sdwa v4, v73, v4 dst_sel:DWORD dst_unused:UNUSED_PAD src0_sel:BYTE_0 src1_sel:DWORD
	v_lshlrev_b32_e32 v8, 3, v6
	v_and_b32_e32 v41, 0xff, v36
	v_lshlrev_b32_e32 v64, 3, v4
	s_clause 0x3
	global_load_dwordx4 v[4:7], v8, s[8:9]
	global_load_dwordx2 v[69:70], v8, s[8:9] offset:16
	global_load_dwordx4 v[8:11], v64, s[8:9]
	global_load_dwordx2 v[71:72], v64, s[8:9] offset:16
	v_mov_b32_e32 v64, 2
	s_waitcnt vmcnt(0) lgkmcnt(0)
	s_barrier
	buffer_gl0_inv
	v_lshlrev_b32_sdwa v60, v64, v60 dst_sel:DWORD dst_unused:UNUSED_PAD src0_sel:DWORD src1_sel:BYTE_0
	v_lshlrev_b32_sdwa v62, v64, v63 dst_sel:DWORD dst_unused:UNUSED_PAD src0_sel:DWORD src1_sel:BYTE_0
	;; [unrolled: 1-line block ×3, first 2 shown]
	v_add3_u32 v63, v74, v60, v56
	v_add3_u32 v62, v61, v62, v56
	;; [unrolled: 1-line block ×3, first 2 shown]
	v_mul_f32_e32 v73, v32, v13
	v_mul_f32_e32 v13, v50, v13
	v_mul_f32_e32 v74, v29, v15
	v_mul_f32_e32 v75, v30, v66
	v_mul_f32_e32 v66, v48, v66
	v_mul_f32_e32 v76, v53, v1
	v_mul_f32_e32 v60, v23, v1
	v_mul_f32_e32 v77, v55, v68
	v_fma_f32 v50, v50, v12, -v73
	v_fmac_f32_e32 v13, v32, v12
	v_fma_f32 v12, v45, v14, -v74
	v_fma_f32 v32, v48, v65, -v75
	v_fmac_f32_e32 v66, v30, v65
	v_mul_f32_e32 v30, v33, v5
	v_mul_f32_e32 v5, v51, v5
	;; [unrolled: 1-line block ×11, first 2 shown]
	v_fma_f32 v9, v23, v0, -v76
	v_fmac_f32_e32 v60, v53, v0
	v_fma_f32 v0, v21, v67, -v77
	v_fma_f32 v21, v51, v4, -v30
	v_fmac_f32_e32 v5, v33, v4
	v_fma_f32 v23, v42, v6, -v48
	v_fma_f32 v33, v49, v69, -v65
	v_sub_f32_e32 v12, v17, v12
	v_fma_f32 v44, v44, v8, -v73
	v_fma_f32 v48, v43, v10, -v74
	;; [unrolled: 1-line block ×3, first 2 shown]
	v_fmac_f32_e32 v70, v31, v69
	v_sub_f32_e32 v31, v50, v32
	v_fmac_f32_e32 v72, v40, v71
	v_fma_f32 v40, v17, 2.0, -v12
	v_sub_f32_e32 v23, v46, v23
	v_sub_f32_e32 v17, v21, v33
	v_fmac_f32_e32 v1, v28, v8
	v_sub_f32_e32 v33, v47, v48
	v_sub_f32_e32 v32, v44, v49
	;; [unrolled: 1-line block ×3, first 2 shown]
	v_fma_f32 v50, v50, 2.0, -v31
	v_sub_f32_e32 v8, v5, v70
	v_fma_f32 v46, v46, 2.0, -v23
	v_fma_f32 v21, v21, 2.0, -v17
	v_sub_f32_e32 v28, v9, v0
	v_sub_f32_e32 v0, v1, v72
	v_fma_f32 v47, v47, 2.0, -v33
	v_fma_f32 v44, v44, 2.0, -v32
	v_fmac_f32_e32 v68, v55, v67
	v_sub_f32_e32 v51, v12, v4
	v_sub_f32_e32 v48, v40, v50
	;; [unrolled: 1-line block ×7, first 2 shown]
	v_fma_f32 v12, v12, 2.0, -v51
	v_fma_f32 v40, v40, 2.0, -v48
	;; [unrolled: 1-line block ×6, first 2 shown]
	ds_write2_b32 v63, v48, v51 offset0:34 offset1:51
	ds_write2_b32 v63, v40, v12 offset1:17
	ds_write2_b32 v62, v21, v49 offset0:34 offset1:51
	ds_write2_b32 v62, v46, v23 offset1:17
	ds_write2_b32 v61, v47, v33 offset1:17
	ds_write2_b32 v61, v44, v50 offset0:34 offset1:51
	s_and_saveexec_b32 s0, s1
	s_cbranch_execz .LBB0_20
; %bb.19:
	v_mul_f32_e32 v12, v54, v3
	v_mul_lo_u16 v21, 0xf1, v41
	v_fma_f32 v9, v9, 2.0, -v28
	v_lshlrev_b32_sdwa v23, v64, v39 dst_sel:DWORD dst_unused:UNUSED_PAD src0_sel:DWORD src1_sel:WORD_0
	v_fma_f32 v12, v20, v2, -v12
	v_lshrrev_b16 v21, 12, v21
	v_sub_f32_e32 v12, v22, v12
	v_and_b32_e32 v21, 0xffff, v21
	v_fma_f32 v22, v22, 2.0, -v12
	v_sub_f32_e32 v33, v12, v30
	v_mad_u32_u24 v21, 0x110, v21, 0
	v_sub_f32_e32 v9, v22, v9
	v_fma_f32 v12, v12, 2.0, -v33
	v_add3_u32 v21, v21, v23, v56
	v_fma_f32 v22, v22, 2.0, -v9
	ds_write2_b32 v21, v22, v12 offset1:17
	ds_write2_b32 v21, v9, v33 offset0:34 offset1:51
.LBB0_20:
	s_or_b32 exec_lo, exec_lo, s0
	v_mul_f32_e32 v9, v45, v15
	v_mul_f32_e32 v7, v42, v7
	;; [unrolled: 1-line block ×3, first 2 shown]
	v_fma_f32 v4, v13, 2.0, -v4
	v_add_nc_u32_e32 v21, 0x600, v58
	v_fmac_f32_e32 v9, v29, v14
	v_fma_f32 v14, v1, 2.0, -v0
	v_fmac_f32_e32 v7, v26, v6
	v_fmac_f32_e32 v11, v27, v10
	v_add_nc_u32_e32 v22, 0x800, v58
	v_sub_f32_e32 v29, v38, v9
	v_add_nc_u32_e32 v26, 0x200, v58
	v_sub_f32_e32 v33, v24, v7
	v_add_nc_u32_e32 v23, 0xa00, v58
	v_add_nc_u32_e32 v27, 0x400, v58
	v_fma_f32 v0, v38, 2.0, -v29
	v_sub_f32_e32 v38, v25, v11
	v_fma_f32 v15, v5, 2.0, -v8
	s_waitcnt lgkmcnt(0)
	s_barrier
	v_sub_f32_e32 v40, v0, v4
	buffer_gl0_inv
	ds_read2_b32 v[12:13], v21 offset0:92 offset1:160
	v_fma_f32 v42, v24, 2.0, -v33
	v_fma_f32 v43, v25, 2.0, -v38
	;; [unrolled: 1-line block ×3, first 2 shown]
	ds_read2_b32 v[6:7], v58 offset0:68 offset1:136
	ds_read2_b32 v[10:11], v22 offset0:100 offset1:168
	;; [unrolled: 1-line block ×5, first 2 shown]
	ds_read_b32 v25, v57
	ds_read_b32 v24, v58 offset:3536
	v_add_f32_e32 v31, v29, v31
	v_sub_f32_e32 v15, v42, v15
	v_add_f32_e32 v17, v33, v17
	v_sub_f32_e32 v14, v43, v14
	v_add_f32_e32 v32, v38, v32
	v_fma_f32 v29, v29, 2.0, -v31
	v_fma_f32 v42, v42, 2.0, -v15
	;; [unrolled: 1-line block ×5, first 2 shown]
	s_waitcnt lgkmcnt(0)
	s_barrier
	buffer_gl0_inv
	ds_write2_b32 v63, v44, v29 offset1:17
	ds_write2_b32 v63, v40, v31 offset0:34 offset1:51
	ds_write2_b32 v62, v42, v33 offset1:17
	ds_write2_b32 v62, v15, v17 offset0:34 offset1:51
	;; [unrolled: 2-line block ×3, first 2 shown]
	s_and_saveexec_b32 s0, s1
	s_cbranch_execz .LBB0_22
; %bb.21:
	v_mul_f32_e32 v3, v20, v3
	v_mul_lo_u16 v14, 0xf1, v41
	v_fma_f32 v15, v60, 2.0, -v30
	v_fmac_f32_e32 v3, v54, v2
	v_lshrrev_b16 v2, 12, v14
	v_mov_b32_e32 v14, 2
	v_sub_f32_e32 v3, v52, v3
	v_and_b32_e32 v2, 0xffff, v2
	v_lshlrev_b32_sdwa v14, v14, v39 dst_sel:DWORD dst_unused:UNUSED_PAD src0_sel:DWORD src1_sel:WORD_0
	v_fma_f32 v17, v52, 2.0, -v3
	v_add_f32_e32 v20, v3, v28
	v_mad_u32_u24 v2, 0x110, v2, 0
	v_sub_f32_e32 v15, v17, v15
	v_fma_f32 v3, v3, 2.0, -v20
	v_add3_u32 v2, v2, v14, v56
	v_fma_f32 v14, v17, 2.0, -v15
	ds_write2_b32 v2, v14, v3 offset1:17
	ds_write2_b32 v2, v15, v20 offset0:34 offset1:51
.LBB0_22:
	s_or_b32 exec_lo, exec_lo, s0
	v_mul_lo_u16 v2, 0x79, v37
	v_mov_b32_e32 v17, 0
	v_mov_b32_e32 v29, 0xf0f1
	v_add_nc_u32_e32 v14, 0x110, v16
	v_add_nc_u32_e32 v20, 0x154, v16
	v_lshrrev_b16 v28, 13, v2
	v_lshlrev_b64 v[2:3], 3, v[16:17]
	v_add_nc_u32_e32 v15, 0x198, v16
	v_mul_u32_u24_sdwa v30, v14, v29 dst_sel:DWORD dst_unused:UNUSED_PAD src0_sel:WORD_0 src1_sel:DWORD
	v_mul_u32_u24_sdwa v31, v20, v29 dst_sel:DWORD dst_unused:UNUSED_PAD src0_sel:WORD_0 src1_sel:DWORD
	v_mul_lo_u16 v17, 0x44, v28
	v_mul_u32_u24_sdwa v28, v36, v29 dst_sel:DWORD dst_unused:UNUSED_PAD src0_sel:WORD_0 src1_sel:DWORD
	v_mul_u32_u24_sdwa v29, v15, v29 dst_sel:DWORD dst_unused:UNUSED_PAD src0_sel:WORD_0 src1_sel:DWORD
	v_lshrrev_b32_e32 v30, 22, v30
	v_add_co_u32 v2, s0, s8, v2
	v_lshrrev_b32_e32 v28, 22, v28
	v_lshrrev_b32_e32 v31, 22, v31
	v_add_co_ci_u32_e64 v3, s0, s9, v3, s0
	v_mul_lo_u16 v30, 0x44, v30
	v_mul_lo_u16 v28, 0x44, v28
	v_lshrrev_b32_e32 v29, 22, v29
	v_sub_nc_u16 v17, v35, v17
	v_mov_b32_e32 v32, 3
	v_mul_lo_u16 v31, 0x44, v31
	v_sub_nc_u16 v52, v36, v28
	s_waitcnt lgkmcnt(0)
	s_barrier
	buffer_gl0_inv
	global_load_dwordx2 v[2:3], v[2:3], off offset:408
	v_sub_nc_u16 v53, v14, v30
	v_mul_lo_u16 v30, 0x44, v29
	v_lshlrev_b32_sdwa v33, v32, v17 dst_sel:DWORD dst_unused:UNUSED_PAD src0_sel:DWORD src1_sel:BYTE_0
	v_sub_nc_u16 v20, v20, v31
	v_lshlrev_b32_sdwa v31, v32, v52 dst_sel:DWORD dst_unused:UNUSED_PAD src0_sel:DWORD src1_sel:WORD_0
	v_mov_b32_e32 v55, 2
	v_sub_nc_u16 v54, v15, v30
	global_load_dwordx2 v[28:29], v33, s[8:9] offset:408
	v_lshlrev_b32_sdwa v36, v32, v20 dst_sel:DWORD dst_unused:UNUSED_PAD src0_sel:DWORD src1_sel:WORD_0
	global_load_dwordx2 v[30:31], v31, s[8:9] offset:408
	v_lshlrev_b32_sdwa v33, v32, v53 dst_sel:DWORD dst_unused:UNUSED_PAD src0_sel:DWORD src1_sel:WORD_0
	v_lshlrev_b32_sdwa v38, v32, v54 dst_sel:DWORD dst_unused:UNUSED_PAD src0_sel:DWORD src1_sel:WORD_0
	s_clause 0x2
	global_load_dwordx2 v[32:33], v33, s[8:9] offset:408
	global_load_dwordx2 v[36:37], v36, s[8:9] offset:408
	;; [unrolled: 1-line block ×3, first 2 shown]
	ds_read2_b32 v[40:41], v21 offset0:92 offset1:160
	ds_read2_b32 v[42:43], v58 offset0:68 offset1:136
	;; [unrolled: 1-line block ×6, first 2 shown]
	ds_read_b32 v59, v57
	ds_read_b32 v60, v58 offset:3536
	v_lshlrev_b32_sdwa v17, v55, v17 dst_sel:DWORD dst_unused:UNUSED_PAD src0_sel:DWORD src1_sel:BYTE_0
	v_lshlrev_b32_sdwa v52, v55, v52 dst_sel:DWORD dst_unused:UNUSED_PAD src0_sel:DWORD src1_sel:WORD_0
	v_lshlrev_b32_sdwa v53, v55, v53 dst_sel:DWORD dst_unused:UNUSED_PAD src0_sel:DWORD src1_sel:WORD_0
	;; [unrolled: 1-line block ×4, first 2 shown]
	v_add3_u32 v17, 0, v17, v56
	v_add3_u32 v52, 0, v52, v56
	;; [unrolled: 1-line block ×5, first 2 shown]
	s_waitcnt vmcnt(0) lgkmcnt(0)
	s_barrier
	buffer_gl0_inv
	v_add_nc_u32_e32 v17, 0x400, v17
	v_add_nc_u32_e32 v52, 0x400, v52
	;; [unrolled: 1-line block ×5, first 2 shown]
	v_mul_f32_e32 v55, v40, v3
	v_mul_f32_e32 v56, v12, v3
	;; [unrolled: 1-line block ×4, first 2 shown]
	v_fma_f32 v12, v12, v2, -v55
	v_fmac_f32_e32 v56, v40, v2
	v_fma_f32 v13, v13, v2, -v61
	v_fmac_f32_e32 v3, v41, v2
	v_mul_f32_e32 v2, v44, v29
	v_mul_f32_e32 v29, v10, v29
	v_sub_f32_e32 v12, v25, v12
	v_sub_f32_e32 v13, v6, v13
	;; [unrolled: 1-line block ×3, first 2 shown]
	v_mul_f32_e32 v3, v45, v31
	v_fma_f32 v2, v10, v28, -v2
	v_fmac_f32_e32 v29, v44, v28
	v_mul_f32_e32 v28, v48, v33
	v_mul_f32_e32 v10, v11, v31
	;; [unrolled: 1-line block ×5, first 2 shown]
	v_fma_f32 v3, v11, v30, -v3
	v_fma_f32 v25, v25, 2.0, -v12
	v_fma_f32 v8, v8, v32, -v28
	v_sub_f32_e32 v2, v7, v2
	v_mul_f32_e32 v37, v9, v37
	v_fma_f32 v6, v6, 2.0, -v13
	v_fma_f32 v9, v9, v36, -v33
	v_fma_f32 v11, v24, v38, -v44
	v_sub_f32_e32 v3, v0, v3
	ds_write2_b32 v58, v25, v12 offset1:68
	ds_write2_b32 v58, v6, v13 offset0:136 offset1:204
	v_fma_f32 v6, v7, 2.0, -v2
	v_sub_f32_e32 v7, v1, v8
	v_sub_f32_e32 v8, v4, v9
	;; [unrolled: 1-line block ×3, first 2 shown]
	v_fmac_f32_e32 v10, v45, v30
	v_fma_f32 v0, v0, 2.0, -v3
	v_fma_f32 v1, v1, 2.0, -v7
	;; [unrolled: 1-line block ×4, first 2 shown]
	v_sub_f32_e32 v25, v46, v10
	ds_write2_b32 v17, v6, v2 offset0:16 offset1:84
	ds_write2_b32 v52, v0, v3 offset0:152 offset1:220
	;; [unrolled: 1-line block ×5, first 2 shown]
	s_waitcnt lgkmcnt(0)
	s_barrier
	buffer_gl0_inv
	ds_read2_b32 v[0:1], v58 offset0:68 offset1:136
	ds_read2_b32 v[2:3], v26 offset0:76 offset1:144
	;; [unrolled: 1-line block ×6, first 2 shown]
	ds_read_b32 v12, v57
	ds_read_b32 v13, v58 offset:3536
	v_mul_f32_e32 v39, v24, v39
	v_fmac_f32_e32 v31, v48, v32
	v_sub_f32_e32 v40, v59, v56
	v_fmac_f32_e32 v37, v49, v36
	v_sub_f32_e32 v24, v43, v29
	;; [unrolled: 2-line block ×3, first 2 shown]
	v_fma_f32 v55, v59, 2.0, -v40
	v_sub_f32_e32 v29, v50, v37
	v_fma_f32 v42, v42, 2.0, -v41
	v_sub_f32_e32 v21, v51, v39
	v_fma_f32 v22, v43, 2.0, -v24
	v_fma_f32 v23, v46, 2.0, -v25
	;; [unrolled: 1-line block ×5, first 2 shown]
	s_waitcnt lgkmcnt(0)
	s_barrier
	buffer_gl0_inv
	ds_write2_b32 v58, v55, v40 offset1:68
	ds_write2_b32 v58, v42, v41 offset0:136 offset1:204
	ds_write2_b32 v17, v22, v24 offset0:16 offset1:84
	ds_write2_b32 v52, v23, v25 offset0:152 offset1:220
	ds_write2_b32 v53, v26, v28 offset0:32 offset1:100
	ds_write2_b32 v20, v27, v29 offset0:168 offset1:236
	ds_write2_b32 v54, v30, v21 offset0:48 offset1:116
	s_waitcnt lgkmcnt(0)
	s_barrier
	buffer_gl0_inv
	s_and_saveexec_b32 s0, vcc_lo
	s_cbranch_execz .LBB0_24
; %bb.23:
	v_mul_u32_u24_e32 v17, 6, v34
	v_mul_u32_u24_e32 v32, 6, v16
	v_mad_u64_u32 v[48:49], null, s2, v16, 0
	v_mad_u64_u32 v[50:51], null, s2, v14, 0
	v_lshlrev_b32_e32 v17, 3, v17
	v_mad_u64_u32 v[52:53], null, s2, v15, 0
	v_add_nc_u32_e32 v73, 0x220, v16
	s_clause 0x2
	global_load_dwordx4 v[20:23], v17, s[8:9] offset:952
	global_load_dwordx4 v[24:27], v17, s[8:9] offset:984
	;; [unrolled: 1-line block ×3, first 2 shown]
	v_lshlrev_b32_e32 v17, 3, v32
	v_add_nc_u32_e32 v74, 0x2a8, v16
	v_add_nc_u32_e32 v75, 0x330, v16
	s_clause 0x2
	global_load_dwordx4 v[36:39], v17, s[8:9] offset:952
	global_load_dwordx4 v[40:43], v17, s[8:9] offset:984
	;; [unrolled: 1-line block ×3, first 2 shown]
	v_mul_hi_u32 v70, 0xf0f0f0f1, v34
	v_add_co_u32 v89, vcc_lo, s12, v18
	v_mad_u64_u32 v[17:18], null, s2, v35, 0
	v_add_co_ci_u32_e32 v90, vcc_lo, s13, v19, vcc_lo
	v_mad_u64_u32 v[64:65], null, s2, v73, 0
	v_mad_u64_u32 v[66:67], null, s2, v74, 0
	v_mad_u64_u32 v[68:69], null, s2, v75, 0
	v_mov_b32_e32 v19, v49
	v_mov_b32_e32 v49, v51
	;; [unrolled: 1-line block ×3, first 2 shown]
	v_lshrrev_b32_e32 v53, 7, v70
	v_add_nc_u32_e32 v54, 0x200, v58
	v_add_nc_u32_e32 v56, 0x800, v58
	;; [unrolled: 1-line block ×4, first 2 shown]
	v_mad_u32_u24 v85, 0x330, v53, v34
	v_add_nc_u32_e32 v62, 0xa00, v58
	ds_read2_b32 v[32:33], v58 offset0:68 offset1:136
	ds_read_b32 v87, v58 offset:3536
	ds_read_b32 v88, v57
	ds_read2_b32 v[54:55], v54 offset0:76 offset1:144
	ds_read2_b32 v[56:57], v56 offset0:100 offset1:168
	;; [unrolled: 1-line block ×5, first 2 shown]
	v_add_nc_u32_e32 v86, 0x88, v85
	v_add_nc_u32_e32 v91, 0x110, v85
	;; [unrolled: 1-line block ×6, first 2 shown]
	v_mad_u64_u32 v[77:78], null, s2, v92, 0
	v_mad_u64_u32 v[79:80], null, s2, v93, 0
	;; [unrolled: 1-line block ×4, first 2 shown]
	s_waitcnt vmcnt(5)
	v_mad_u64_u32 v[70:71], null, s3, v16, v[19:20]
	v_mad_u64_u32 v[18:19], null, s3, v35, v[18:19]
	;; [unrolled: 1-line block ×4, first 2 shown]
	v_mov_b32_e32 v15, v65
	v_mov_b32_e32 v16, v67
	;; [unrolled: 1-line block ×5, first 2 shown]
	v_mad_u64_u32 v[70:71], null, s2, v86, 0
	v_mad_u64_u32 v[34:35], null, s3, v73, v[15:16]
	;; [unrolled: 1-line block ×5, first 2 shown]
	v_lshlrev_b64 v[48:49], 3, v[48:49]
	v_mad_u64_u32 v[75:76], null, s2, v91, 0
	v_lshlrev_b64 v[16:17], 3, v[17:18]
	v_mov_b32_e32 v53, v14
	v_mov_b32_e32 v65, v34
	;; [unrolled: 1-line block ×4, first 2 shown]
	v_lshlrev_b64 v[18:19], 3, v[50:51]
	v_add_co_u32 v48, vcc_lo, v89, v48
	v_add_co_ci_u32_e32 v49, vcc_lo, v90, v49, vcc_lo
	v_lshlrev_b64 v[14:15], 3, v[52:53]
	v_mad_u64_u32 v[34:35], null, s3, v85, v[34:35]
	v_add_co_u32 v16, vcc_lo, v89, v16
	v_lshlrev_b64 v[52:53], 3, v[66:67]
	v_mov_b32_e32 v35, v71
	v_mov_b32_e32 v66, v76
	;; [unrolled: 1-line block ×4, first 2 shown]
	v_add_co_ci_u32_e32 v17, vcc_lo, v90, v17, vcc_lo
	v_lshlrev_b64 v[50:51], 3, v[64:65]
	v_add_co_u32 v18, vcc_lo, v89, v18
	v_add_co_ci_u32_e32 v19, vcc_lo, v90, v19, vcc_lo
	v_add_co_u32 v14, vcc_lo, v89, v14
	s_waitcnt vmcnt(2)
	v_mad_u64_u32 v[71:72], null, s3, v86, v[35:36]
	v_mad_u64_u32 v[85:86], null, s3, v91, v[66:67]
	v_lshlrev_b64 v[64:65], 3, v[68:69]
	v_mov_b32_e32 v68, v80
	v_mov_b32_e32 v69, v82
	v_add_co_ci_u32_e32 v15, vcc_lo, v90, v15, vcc_lo
	v_add_co_u32 v50, vcc_lo, v89, v50
	v_mov_b32_e32 v74, v34
	v_add_co_ci_u32_e32 v51, vcc_lo, v90, v51, vcc_lo
	v_mad_u64_u32 v[66:67], null, s3, v92, v[67:68]
	v_add_co_u32 v34, vcc_lo, v89, v52
	v_mad_u64_u32 v[67:68], null, s3, v93, v[68:69]
	v_add_co_ci_u32_e32 v35, vcc_lo, v90, v53, vcc_lo
	v_lshlrev_b64 v[52:53], 3, v[73:74]
	v_mov_b32_e32 v76, v85
	s_waitcnt lgkmcnt(4)
	v_mul_f32_e32 v68, v54, v21
	v_mul_f32_e32 v72, v87, v27
	s_waitcnt lgkmcnt(3)
	v_mul_f32_e32 v73, v56, v31
	s_waitcnt lgkmcnt(2)
	;; [unrolled: 2-line block ×4, first 2 shown]
	v_mul_f32_e32 v80, v62, v25
	v_mul_f32_e32 v27, v13, v27
	;; [unrolled: 1-line block ×8, first 2 shown]
	s_waitcnt vmcnt(1)
	v_mul_f32_e32 v85, v63, v43
	v_mul_f32_e32 v92, v55, v39
	;; [unrolled: 1-line block ×7, first 2 shown]
	s_waitcnt vmcnt(0)
	v_mul_f32_e32 v86, v59, v47
	v_mul_f32_e32 v91, v61, v45
	v_mul_f32_e32 v45, v5, v45
	v_mul_f32_e32 v47, v9, v47
	v_fma_f32 v2, v2, v20, -v68
	v_fma_f32 v13, v13, v26, -v72
	;; [unrolled: 1-line block ×6, first 2 shown]
	v_fmac_f32_e32 v27, v26, v87
	v_fmac_f32_e32 v21, v20, v54
	;; [unrolled: 1-line block ×6, first 2 shown]
	v_fma_f32 v1, v1, v36, -v82
	v_fma_f32 v11, v11, v42, -v85
	;; [unrolled: 1-line block ×4, first 2 shown]
	v_fmac_f32_e32 v43, v42, v63
	v_fmac_f32_e32 v37, v36, v33
	;; [unrolled: 1-line block ×4, first 2 shown]
	v_fma_f32 v9, v9, v46, -v86
	v_fma_f32 v5, v5, v44, -v91
	v_fmac_f32_e32 v45, v44, v61
	v_fmac_f32_e32 v47, v46, v59
	v_sub_f32_e32 v20, v2, v13
	v_sub_f32_e32 v22, v6, v8
	;; [unrolled: 1-line block ×3, first 2 shown]
	v_add_f32_e32 v26, v21, v27
	v_add_f32_e32 v28, v31, v29
	v_add_f32_e32 v30, v23, v25
	v_add_f32_e32 v2, v2, v13
	v_add_f32_e32 v6, v6, v8
	v_add_f32_e32 v4, v4, v10
	v_sub_f32_e32 v8, v21, v27
	v_sub_f32_e32 v10, v31, v29
	;; [unrolled: 1-line block ×5, first 2 shown]
	v_add_f32_e32 v27, v37, v43
	v_add_f32_e32 v31, v39, v41
	v_add_f32_e32 v1, v1, v11
	v_add_f32_e32 v3, v3, v7
	v_sub_f32_e32 v23, v9, v5
	v_add_f32_e32 v29, v47, v45
	v_add_f32_e32 v5, v9, v5
	v_sub_f32_e32 v7, v37, v43
	v_sub_f32_e32 v9, v47, v45
	v_sub_f32_e32 v11, v39, v41
	v_sub_f32_e32 v33, v20, v22
	v_sub_f32_e32 v36, v22, v24
	v_add_f32_e32 v22, v22, v24
	v_sub_f32_e32 v37, v26, v28
	v_sub_f32_e32 v38, v28, v30
	v_add_f32_e32 v39, v26, v30
	v_sub_f32_e32 v40, v2, v6
	v_sub_f32_e32 v41, v6, v4
	;; [unrolled: 3-line block ×4, first 2 shown]
	v_sub_f32_e32 v4, v13, v8
	v_add_f32_e32 v47, v27, v31
	v_add_f32_e32 v56, v1, v3
	v_sub_f32_e32 v26, v30, v26
	v_sub_f32_e32 v13, v21, v23
	;; [unrolled: 1-line block ×3, first 2 shown]
	v_add_f32_e32 v23, v23, v25
	v_sub_f32_e32 v45, v27, v29
	v_sub_f32_e32 v46, v29, v31
	;; [unrolled: 1-line block ×6, first 2 shown]
	v_add_f32_e32 v9, v9, v11
	v_sub_f32_e32 v25, v25, v21
	v_sub_f32_e32 v27, v31, v27
	;; [unrolled: 1-line block ×3, first 2 shown]
	v_mul_f32_e32 v3, 0xbf08b237, v36
	v_add_f32_e32 v20, v20, v22
	v_mul_f32_e32 v22, 0x3f4a47b2, v37
	v_mul_f32_e32 v36, 0x3d64c772, v38
	v_add_f32_e32 v28, v28, v39
	v_mul_f32_e32 v38, 0x3f4a47b2, v40
	v_mul_f32_e32 v39, 0x3d64c772, v41
	v_add_f32_e32 v6, v6, v42
	v_mul_f32_e32 v41, 0xbf08b237, v44
	v_add_f32_e32 v8, v8, v10
	v_mul_f32_e32 v10, 0x3f5ff5aa, v24
	v_mul_f32_e32 v42, 0x3f5ff5aa, v4
	v_add_f32_e32 v29, v29, v47
	v_add_f32_e32 v5, v5, v56
	v_sub_f32_e32 v11, v11, v7
	v_mul_f32_e32 v30, 0xbf08b237, v30
	v_add_f32_e32 v21, v21, v23
	v_mul_f32_e32 v23, 0x3f4a47b2, v45
	v_mul_f32_e32 v44, 0x3d64c772, v46
	;; [unrolled: 1-line block ×4, first 2 shown]
	v_add_f32_e32 v7, v7, v9
	v_mul_f32_e32 v9, 0x3f5ff5aa, v25
	v_fmamk_f32 v58, v33, 0x3eae86e6, v3
	v_fmamk_f32 v37, v37, 0x3f4a47b2, v36
	v_add_f32_e32 v1, v32, v28
	v_fmamk_f32 v32, v40, 0x3f4a47b2, v39
	v_add_f32_e32 v0, v0, v6
	v_fmamk_f32 v40, v43, 0x3eae86e6, v41
	v_fma_f32 v10, 0xbeae86e6, v33, -v10
	v_fma_f32 v22, 0xbf3bfb3b, v26, -v22
	;; [unrolled: 1-line block ×8, first 2 shown]
	v_add_f32_e32 v3, v88, v29
	v_add_f32_e32 v2, v12, v5
	v_mul_f32_e32 v46, 0x3f4a47b2, v54
	v_mul_f32_e32 v56, 0x3f5ff5aa, v11
	v_fmamk_f32 v39, v13, 0x3eae86e6, v30
	v_fmamk_f32 v41, v45, 0x3f4a47b2, v44
	v_fmamk_f32 v42, v54, 0x3f4a47b2, v47
	v_fmamk_f32 v43, v57, 0x3eae86e6, v55
	v_fma_f32 v45, 0xbeae86e6, v13, -v9
	v_fma_f32 v9, 0xbf3bfb3b, v27, -v23
	;; [unrolled: 1-line block ×4, first 2 shown]
	v_fmamk_f32 v23, v28, 0xbf955555, v1
	v_fmamk_f32 v6, v6, 0xbf955555, v0
	v_fmac_f32_e32 v40, 0x3ee1c552, v8
	v_fmac_f32_e32 v38, 0x3ee1c552, v8
	;; [unrolled: 1-line block ×3, first 2 shown]
	v_fmamk_f32 v8, v29, 0xbf955555, v3
	v_fmamk_f32 v5, v5, 0xbf955555, v2
	v_fma_f32 v12, 0xbf3bfb3b, v31, -v46
	v_fma_f32 v46, 0xbeae86e6, v57, -v56
	;; [unrolled: 1-line block ×4, first 2 shown]
	v_add_co_u32 v64, vcc_lo, v89, v64
	v_lshlrev_b64 v[70:71], 3, v[70:71]
	v_fmac_f32_e32 v58, 0x3ee1c552, v20
	v_fmac_f32_e32 v10, 0x3ee1c552, v20
	;; [unrolled: 1-line block ×6, first 2 shown]
	v_add_f32_e32 v20, v37, v23
	v_add_f32_e32 v22, v22, v23
	;; [unrolled: 1-line block ×6, first 2 shown]
	v_add_co_ci_u32_e32 v65, vcc_lo, v90, v65, vcc_lo
	v_fmac_f32_e32 v45, 0x3ee1c552, v21
	v_fmac_f32_e32 v46, 0x3ee1c552, v7
	v_add_f32_e32 v21, v32, v6
	v_add_f32_e32 v23, v26, v23
	;; [unrolled: 1-line block ×4, first 2 shown]
	v_add_co_u32 v52, vcc_lo, v89, v52
	v_fmac_f32_e32 v44, 0x3ee1c552, v7
	v_add_f32_e32 v26, v4, v6
	v_add_f32_e32 v33, v11, v5
	v_add_co_ci_u32_e32 v53, vcc_lo, v90, v53, vcc_lo
	v_add_co_u32 v70, vcc_lo, v89, v70
	global_store_dwordx2 v[48:49], v[2:3], off
	v_add_f32_e32 v3, v58, v20
	v_add_f32_e32 v5, v10, v22
	v_sub_f32_e32 v4, v25, v38
	v_sub_f32_e32 v11, v22, v10
	v_add_f32_e32 v10, v38, v25
	v_sub_f32_e32 v13, v20, v58
	v_sub_f32_e32 v20, v30, v43
	;; [unrolled: 1-line block ×3, first 2 shown]
	v_add_f32_e32 v27, v27, v31
	v_sub_f32_e32 v31, v28, v39
	v_add_f32_e32 v30, v43, v30
	v_mov_b32_e32 v78, v66
	v_sub_f32_e32 v2, v21, v40
	v_sub_f32_e32 v7, v23, v24
	v_add_f32_e32 v9, v24, v23
	v_add_f32_e32 v12, v40, v21
	v_add_f32_e32 v21, v39, v28
	v_add_f32_e32 v23, v45, v29
	v_sub_f32_e32 v29, v29, v45
	v_add_f32_e32 v28, v46, v32
	v_add_f32_e32 v6, v36, v26
	v_sub_f32_e32 v8, v26, v36
	v_sub_f32_e32 v26, v33, v44
	v_add_f32_e32 v24, v44, v33
	v_sub_f32_e32 v22, v32, v46
	v_add_co_ci_u32_e32 v71, vcc_lo, v90, v71, vcc_lo
	global_store_dwordx2 v[16:17], v[30:31], off
	global_store_dwordx2 v[18:19], v[28:29], off
	;; [unrolled: 1-line block ×8, first 2 shown]
	v_mad_u64_u32 v[12:13], null, s3, v94, v[69:70]
	v_lshlrev_b64 v[14:15], 3, v[77:78]
	v_mov_b32_e32 v13, v84
	v_lshlrev_b64 v[0:1], 3, v[75:76]
	v_mov_b32_e32 v80, v67
	v_mad_u64_u32 v[16:17], null, s3, v95, v[13:14]
	v_add_co_u32 v0, vcc_lo, v89, v0
	v_lshlrev_b64 v[17:18], 3, v[79:80]
	v_mov_b32_e32 v82, v12
	v_add_co_ci_u32_e32 v1, vcc_lo, v90, v1, vcc_lo
	v_add_co_u32 v12, vcc_lo, v89, v14
	v_mov_b32_e32 v84, v16
	v_add_co_ci_u32_e32 v13, vcc_lo, v90, v15, vcc_lo
	v_lshlrev_b64 v[14:15], 3, v[81:82]
	v_add_co_u32 v16, vcc_lo, v89, v17
	v_add_co_ci_u32_e32 v17, vcc_lo, v90, v18, vcc_lo
	v_lshlrev_b64 v[18:19], 3, v[83:84]
	v_add_co_u32 v14, vcc_lo, v89, v14
	v_add_co_ci_u32_e32 v15, vcc_lo, v90, v15, vcc_lo
	v_add_co_u32 v18, vcc_lo, v89, v18
	v_add_co_ci_u32_e32 v19, vcc_lo, v90, v19, vcc_lo
	global_store_dwordx2 v[0:1], v[10:11], off
	global_store_dwordx2 v[12:13], v[8:9], off
	;; [unrolled: 1-line block ×5, first 2 shown]
.LBB0_24:
	s_endpgm
	.section	.rodata,"a",@progbits
	.p2align	6, 0x0
	.amdhsa_kernel fft_rtc_fwd_len952_factors_17_4_2_7_wgs_204_tpt_68_halfLds_sp_ip_CI_sbrr_dirReg
		.amdhsa_group_segment_fixed_size 0
		.amdhsa_private_segment_fixed_size 0
		.amdhsa_kernarg_size 88
		.amdhsa_user_sgpr_count 6
		.amdhsa_user_sgpr_private_segment_buffer 1
		.amdhsa_user_sgpr_dispatch_ptr 0
		.amdhsa_user_sgpr_queue_ptr 0
		.amdhsa_user_sgpr_kernarg_segment_ptr 1
		.amdhsa_user_sgpr_dispatch_id 0
		.amdhsa_user_sgpr_flat_scratch_init 0
		.amdhsa_user_sgpr_private_segment_size 0
		.amdhsa_wavefront_size32 1
		.amdhsa_uses_dynamic_stack 0
		.amdhsa_system_sgpr_private_segment_wavefront_offset 0
		.amdhsa_system_sgpr_workgroup_id_x 1
		.amdhsa_system_sgpr_workgroup_id_y 0
		.amdhsa_system_sgpr_workgroup_id_z 0
		.amdhsa_system_sgpr_workgroup_info 0
		.amdhsa_system_vgpr_workitem_id 0
		.amdhsa_next_free_vgpr 119
		.amdhsa_next_free_sgpr 23
		.amdhsa_reserve_vcc 1
		.amdhsa_reserve_flat_scratch 0
		.amdhsa_float_round_mode_32 0
		.amdhsa_float_round_mode_16_64 0
		.amdhsa_float_denorm_mode_32 3
		.amdhsa_float_denorm_mode_16_64 3
		.amdhsa_dx10_clamp 1
		.amdhsa_ieee_mode 1
		.amdhsa_fp16_overflow 0
		.amdhsa_workgroup_processor_mode 1
		.amdhsa_memory_ordered 1
		.amdhsa_forward_progress 0
		.amdhsa_shared_vgpr_count 0
		.amdhsa_exception_fp_ieee_invalid_op 0
		.amdhsa_exception_fp_denorm_src 0
		.amdhsa_exception_fp_ieee_div_zero 0
		.amdhsa_exception_fp_ieee_overflow 0
		.amdhsa_exception_fp_ieee_underflow 0
		.amdhsa_exception_fp_ieee_inexact 0
		.amdhsa_exception_int_div_zero 0
	.end_amdhsa_kernel
	.text
.Lfunc_end0:
	.size	fft_rtc_fwd_len952_factors_17_4_2_7_wgs_204_tpt_68_halfLds_sp_ip_CI_sbrr_dirReg, .Lfunc_end0-fft_rtc_fwd_len952_factors_17_4_2_7_wgs_204_tpt_68_halfLds_sp_ip_CI_sbrr_dirReg
                                        ; -- End function
	.section	.AMDGPU.csdata,"",@progbits
; Kernel info:
; codeLenInByte = 12636
; NumSgprs: 25
; NumVgprs: 119
; ScratchSize: 0
; MemoryBound: 0
; FloatMode: 240
; IeeeMode: 1
; LDSByteSize: 0 bytes/workgroup (compile time only)
; SGPRBlocks: 3
; VGPRBlocks: 14
; NumSGPRsForWavesPerEU: 25
; NumVGPRsForWavesPerEU: 119
; Occupancy: 8
; WaveLimiterHint : 1
; COMPUTE_PGM_RSRC2:SCRATCH_EN: 0
; COMPUTE_PGM_RSRC2:USER_SGPR: 6
; COMPUTE_PGM_RSRC2:TRAP_HANDLER: 0
; COMPUTE_PGM_RSRC2:TGID_X_EN: 1
; COMPUTE_PGM_RSRC2:TGID_Y_EN: 0
; COMPUTE_PGM_RSRC2:TGID_Z_EN: 0
; COMPUTE_PGM_RSRC2:TIDIG_COMP_CNT: 0
	.text
	.p2alignl 6, 3214868480
	.fill 48, 4, 3214868480
	.type	__hip_cuid_75eb97cc934da6d1,@object ; @__hip_cuid_75eb97cc934da6d1
	.section	.bss,"aw",@nobits
	.globl	__hip_cuid_75eb97cc934da6d1
__hip_cuid_75eb97cc934da6d1:
	.byte	0                               ; 0x0
	.size	__hip_cuid_75eb97cc934da6d1, 1

	.ident	"AMD clang version 19.0.0git (https://github.com/RadeonOpenCompute/llvm-project roc-6.4.0 25133 c7fe45cf4b819c5991fe208aaa96edf142730f1d)"
	.section	".note.GNU-stack","",@progbits
	.addrsig
	.addrsig_sym __hip_cuid_75eb97cc934da6d1
	.amdgpu_metadata
---
amdhsa.kernels:
  - .args:
      - .actual_access:  read_only
        .address_space:  global
        .offset:         0
        .size:           8
        .value_kind:     global_buffer
      - .offset:         8
        .size:           8
        .value_kind:     by_value
      - .actual_access:  read_only
        .address_space:  global
        .offset:         16
        .size:           8
        .value_kind:     global_buffer
      - .actual_access:  read_only
        .address_space:  global
        .offset:         24
        .size:           8
        .value_kind:     global_buffer
      - .offset:         32
        .size:           8
        .value_kind:     by_value
      - .actual_access:  read_only
        .address_space:  global
        .offset:         40
        .size:           8
        .value_kind:     global_buffer
      - .actual_access:  read_only
        .address_space:  global
        .offset:         48
        .size:           8
        .value_kind:     global_buffer
      - .offset:         56
        .size:           4
        .value_kind:     by_value
      - .actual_access:  read_only
        .address_space:  global
        .offset:         64
        .size:           8
        .value_kind:     global_buffer
      - .actual_access:  read_only
        .address_space:  global
        .offset:         72
        .size:           8
        .value_kind:     global_buffer
      - .address_space:  global
        .offset:         80
        .size:           8
        .value_kind:     global_buffer
    .group_segment_fixed_size: 0
    .kernarg_segment_align: 8
    .kernarg_segment_size: 88
    .language:       OpenCL C
    .language_version:
      - 2
      - 0
    .max_flat_workgroup_size: 204
    .name:           fft_rtc_fwd_len952_factors_17_4_2_7_wgs_204_tpt_68_halfLds_sp_ip_CI_sbrr_dirReg
    .private_segment_fixed_size: 0
    .sgpr_count:     25
    .sgpr_spill_count: 0
    .symbol:         fft_rtc_fwd_len952_factors_17_4_2_7_wgs_204_tpt_68_halfLds_sp_ip_CI_sbrr_dirReg.kd
    .uniform_work_group_size: 1
    .uses_dynamic_stack: false
    .vgpr_count:     119
    .vgpr_spill_count: 0
    .wavefront_size: 32
    .workgroup_processor_mode: 1
amdhsa.target:   amdgcn-amd-amdhsa--gfx1030
amdhsa.version:
  - 1
  - 2
...

	.end_amdgpu_metadata
